;; amdgpu-corpus repo=ROCm/rocFFT kind=compiled arch=gfx1201 opt=O3
	.text
	.amdgcn_target "amdgcn-amd-amdhsa--gfx1201"
	.amdhsa_code_object_version 6
	.protected	fft_rtc_fwd_len816_factors_17_2_3_2_2_2_wgs_51_tpt_51_halfLds_dp_ip_CI_sbrr_dirReg ; -- Begin function fft_rtc_fwd_len816_factors_17_2_3_2_2_2_wgs_51_tpt_51_halfLds_dp_ip_CI_sbrr_dirReg
	.globl	fft_rtc_fwd_len816_factors_17_2_3_2_2_2_wgs_51_tpt_51_halfLds_dp_ip_CI_sbrr_dirReg
	.p2align	8
	.type	fft_rtc_fwd_len816_factors_17_2_3_2_2_2_wgs_51_tpt_51_halfLds_dp_ip_CI_sbrr_dirReg,@function
fft_rtc_fwd_len816_factors_17_2_3_2_2_2_wgs_51_tpt_51_halfLds_dp_ip_CI_sbrr_dirReg: ; @fft_rtc_fwd_len816_factors_17_2_3_2_2_2_wgs_51_tpt_51_halfLds_dp_ip_CI_sbrr_dirReg
; %bb.0:
	s_clause 0x2
	s_load_b64 s[12:13], s[0:1], 0x18
	s_load_b128 s[4:7], s[0:1], 0x0
	s_load_b64 s[10:11], s[0:1], 0x50
	v_mul_u32_u24_e32 v1, 0x506, v0
	v_mov_b32_e32 v3, 0
	s_delay_alu instid0(VALU_DEP_2) | instskip(NEXT) | instid1(VALU_DEP_1)
	v_lshrrev_b32_e32 v1, 16, v1
	v_add_nc_u32_e32 v5, ttmp9, v1
	v_mov_b32_e32 v1, 0
	v_mov_b32_e32 v2, 0
	;; [unrolled: 1-line block ×3, first 2 shown]
	s_wait_kmcnt 0x0
	s_load_b64 s[8:9], s[12:13], 0x0
	v_cmp_lt_u64_e64 s2, s[6:7], 2
	s_delay_alu instid0(VALU_DEP_1)
	s_and_b32 vcc_lo, exec_lo, s2
	s_cbranch_vccnz .LBB0_8
; %bb.1:
	s_load_b64 s[2:3], s[0:1], 0x10
	v_mov_b32_e32 v1, 0
	v_mov_b32_e32 v2, 0
	s_add_nc_u64 s[14:15], s[12:13], 8
	s_mov_b64 s[16:17], 1
	s_wait_kmcnt 0x0
	s_add_nc_u64 s[18:19], s[2:3], 8
	s_mov_b32 s3, 0
.LBB0_2:                                ; =>This Inner Loop Header: Depth=1
	s_load_b64 s[20:21], s[18:19], 0x0
                                        ; implicit-def: $vgpr7_vgpr8
	s_mov_b32 s2, exec_lo
	s_wait_kmcnt 0x0
	v_or_b32_e32 v4, s21, v6
	s_delay_alu instid0(VALU_DEP_1)
	v_cmpx_ne_u64_e32 0, v[3:4]
	s_wait_alu 0xfffe
	s_xor_b32 s22, exec_lo, s2
	s_cbranch_execz .LBB0_4
; %bb.3:                                ;   in Loop: Header=BB0_2 Depth=1
	s_cvt_f32_u32 s2, s20
	s_cvt_f32_u32 s23, s21
	s_sub_nc_u64 s[26:27], 0, s[20:21]
	s_wait_alu 0xfffe
	s_delay_alu instid0(SALU_CYCLE_1) | instskip(SKIP_1) | instid1(SALU_CYCLE_2)
	s_fmamk_f32 s2, s23, 0x4f800000, s2
	s_wait_alu 0xfffe
	v_s_rcp_f32 s2, s2
	s_delay_alu instid0(TRANS32_DEP_1) | instskip(SKIP_1) | instid1(SALU_CYCLE_2)
	s_mul_f32 s2, s2, 0x5f7ffffc
	s_wait_alu 0xfffe
	s_mul_f32 s23, s2, 0x2f800000
	s_wait_alu 0xfffe
	s_delay_alu instid0(SALU_CYCLE_2) | instskip(SKIP_1) | instid1(SALU_CYCLE_2)
	s_trunc_f32 s23, s23
	s_wait_alu 0xfffe
	s_fmamk_f32 s2, s23, 0xcf800000, s2
	s_cvt_u32_f32 s25, s23
	s_wait_alu 0xfffe
	s_delay_alu instid0(SALU_CYCLE_1) | instskip(SKIP_1) | instid1(SALU_CYCLE_2)
	s_cvt_u32_f32 s24, s2
	s_wait_alu 0xfffe
	s_mul_u64 s[28:29], s[26:27], s[24:25]
	s_wait_alu 0xfffe
	s_mul_hi_u32 s31, s24, s29
	s_mul_i32 s30, s24, s29
	s_mul_hi_u32 s2, s24, s28
	s_mul_i32 s33, s25, s28
	s_wait_alu 0xfffe
	s_add_nc_u64 s[30:31], s[2:3], s[30:31]
	s_mul_hi_u32 s23, s25, s28
	s_mul_hi_u32 s34, s25, s29
	s_add_co_u32 s2, s30, s33
	s_wait_alu 0xfffe
	s_add_co_ci_u32 s2, s31, s23
	s_mul_i32 s28, s25, s29
	s_add_co_ci_u32 s29, s34, 0
	s_wait_alu 0xfffe
	s_add_nc_u64 s[28:29], s[2:3], s[28:29]
	s_wait_alu 0xfffe
	v_add_co_u32 v4, s2, s24, s28
	s_delay_alu instid0(VALU_DEP_1) | instskip(SKIP_1) | instid1(VALU_DEP_1)
	s_cmp_lg_u32 s2, 0
	s_add_co_ci_u32 s25, s25, s29
	v_readfirstlane_b32 s24, v4
	s_wait_alu 0xfffe
	s_delay_alu instid0(VALU_DEP_1)
	s_mul_u64 s[26:27], s[26:27], s[24:25]
	s_wait_alu 0xfffe
	s_mul_hi_u32 s29, s24, s27
	s_mul_i32 s28, s24, s27
	s_mul_hi_u32 s2, s24, s26
	s_mul_i32 s30, s25, s26
	s_wait_alu 0xfffe
	s_add_nc_u64 s[28:29], s[2:3], s[28:29]
	s_mul_hi_u32 s23, s25, s26
	s_mul_hi_u32 s24, s25, s27
	s_wait_alu 0xfffe
	s_add_co_u32 s2, s28, s30
	s_add_co_ci_u32 s2, s29, s23
	s_mul_i32 s26, s25, s27
	s_add_co_ci_u32 s27, s24, 0
	s_wait_alu 0xfffe
	s_add_nc_u64 s[26:27], s[2:3], s[26:27]
	s_wait_alu 0xfffe
	v_add_co_u32 v4, s2, v4, s26
	s_delay_alu instid0(VALU_DEP_1) | instskip(SKIP_1) | instid1(VALU_DEP_1)
	s_cmp_lg_u32 s2, 0
	s_add_co_ci_u32 s2, s25, s27
	v_mul_hi_u32 v13, v5, v4
	s_wait_alu 0xfffe
	v_mad_co_u64_u32 v[7:8], null, v5, s2, 0
	v_mad_co_u64_u32 v[9:10], null, v6, v4, 0
	;; [unrolled: 1-line block ×3, first 2 shown]
	s_delay_alu instid0(VALU_DEP_3) | instskip(SKIP_1) | instid1(VALU_DEP_4)
	v_add_co_u32 v4, vcc_lo, v13, v7
	s_wait_alu 0xfffd
	v_add_co_ci_u32_e32 v7, vcc_lo, 0, v8, vcc_lo
	s_delay_alu instid0(VALU_DEP_2) | instskip(SKIP_1) | instid1(VALU_DEP_2)
	v_add_co_u32 v4, vcc_lo, v4, v9
	s_wait_alu 0xfffd
	v_add_co_ci_u32_e32 v4, vcc_lo, v7, v10, vcc_lo
	s_wait_alu 0xfffd
	v_add_co_ci_u32_e32 v7, vcc_lo, 0, v12, vcc_lo
	s_delay_alu instid0(VALU_DEP_2) | instskip(SKIP_1) | instid1(VALU_DEP_2)
	v_add_co_u32 v4, vcc_lo, v4, v11
	s_wait_alu 0xfffd
	v_add_co_ci_u32_e32 v9, vcc_lo, 0, v7, vcc_lo
	s_delay_alu instid0(VALU_DEP_2) | instskip(SKIP_1) | instid1(VALU_DEP_3)
	v_mul_lo_u32 v10, s21, v4
	v_mad_co_u64_u32 v[7:8], null, s20, v4, 0
	v_mul_lo_u32 v11, s20, v9
	s_delay_alu instid0(VALU_DEP_2) | instskip(NEXT) | instid1(VALU_DEP_2)
	v_sub_co_u32 v7, vcc_lo, v5, v7
	v_add3_u32 v8, v8, v11, v10
	s_delay_alu instid0(VALU_DEP_1) | instskip(SKIP_1) | instid1(VALU_DEP_1)
	v_sub_nc_u32_e32 v10, v6, v8
	s_wait_alu 0xfffd
	v_subrev_co_ci_u32_e64 v10, s2, s21, v10, vcc_lo
	v_add_co_u32 v11, s2, v4, 2
	s_wait_alu 0xf1ff
	v_add_co_ci_u32_e64 v12, s2, 0, v9, s2
	v_sub_co_u32 v13, s2, v7, s20
	v_sub_co_ci_u32_e32 v8, vcc_lo, v6, v8, vcc_lo
	s_wait_alu 0xf1ff
	v_subrev_co_ci_u32_e64 v10, s2, 0, v10, s2
	s_delay_alu instid0(VALU_DEP_3) | instskip(NEXT) | instid1(VALU_DEP_3)
	v_cmp_le_u32_e32 vcc_lo, s20, v13
	v_cmp_eq_u32_e64 s2, s21, v8
	s_wait_alu 0xfffd
	v_cndmask_b32_e64 v13, 0, -1, vcc_lo
	v_cmp_le_u32_e32 vcc_lo, s21, v10
	s_wait_alu 0xfffd
	v_cndmask_b32_e64 v14, 0, -1, vcc_lo
	v_cmp_le_u32_e32 vcc_lo, s20, v7
	;; [unrolled: 3-line block ×3, first 2 shown]
	s_wait_alu 0xfffd
	v_cndmask_b32_e64 v15, 0, -1, vcc_lo
	v_cmp_eq_u32_e32 vcc_lo, s21, v10
	s_wait_alu 0xf1ff
	s_delay_alu instid0(VALU_DEP_2)
	v_cndmask_b32_e64 v7, v15, v7, s2
	s_wait_alu 0xfffd
	v_cndmask_b32_e32 v10, v14, v13, vcc_lo
	v_add_co_u32 v13, vcc_lo, v4, 1
	s_wait_alu 0xfffd
	v_add_co_ci_u32_e32 v14, vcc_lo, 0, v9, vcc_lo
	s_delay_alu instid0(VALU_DEP_3) | instskip(SKIP_2) | instid1(VALU_DEP_3)
	v_cmp_ne_u32_e32 vcc_lo, 0, v10
	s_wait_alu 0xfffd
	v_cndmask_b32_e32 v10, v13, v11, vcc_lo
	v_cndmask_b32_e32 v8, v14, v12, vcc_lo
	v_cmp_ne_u32_e32 vcc_lo, 0, v7
	s_wait_alu 0xfffd
	s_delay_alu instid0(VALU_DEP_2)
	v_dual_cndmask_b32 v7, v4, v10 :: v_dual_cndmask_b32 v8, v9, v8
.LBB0_4:                                ;   in Loop: Header=BB0_2 Depth=1
	s_wait_alu 0xfffe
	s_and_not1_saveexec_b32 s2, s22
	s_cbranch_execz .LBB0_6
; %bb.5:                                ;   in Loop: Header=BB0_2 Depth=1
	v_cvt_f32_u32_e32 v4, s20
	s_sub_co_i32 s22, 0, s20
	s_delay_alu instid0(VALU_DEP_1) | instskip(NEXT) | instid1(TRANS32_DEP_1)
	v_rcp_iflag_f32_e32 v4, v4
	v_mul_f32_e32 v4, 0x4f7ffffe, v4
	s_delay_alu instid0(VALU_DEP_1) | instskip(SKIP_1) | instid1(VALU_DEP_1)
	v_cvt_u32_f32_e32 v4, v4
	s_wait_alu 0xfffe
	v_mul_lo_u32 v7, s22, v4
	s_delay_alu instid0(VALU_DEP_1) | instskip(NEXT) | instid1(VALU_DEP_1)
	v_mul_hi_u32 v7, v4, v7
	v_add_nc_u32_e32 v4, v4, v7
	s_delay_alu instid0(VALU_DEP_1) | instskip(NEXT) | instid1(VALU_DEP_1)
	v_mul_hi_u32 v4, v5, v4
	v_mul_lo_u32 v7, v4, s20
	v_add_nc_u32_e32 v8, 1, v4
	s_delay_alu instid0(VALU_DEP_2) | instskip(NEXT) | instid1(VALU_DEP_1)
	v_sub_nc_u32_e32 v7, v5, v7
	v_subrev_nc_u32_e32 v9, s20, v7
	v_cmp_le_u32_e32 vcc_lo, s20, v7
	s_wait_alu 0xfffd
	s_delay_alu instid0(VALU_DEP_2) | instskip(NEXT) | instid1(VALU_DEP_1)
	v_dual_cndmask_b32 v7, v7, v9 :: v_dual_cndmask_b32 v4, v4, v8
	v_cmp_le_u32_e32 vcc_lo, s20, v7
	s_delay_alu instid0(VALU_DEP_2) | instskip(SKIP_1) | instid1(VALU_DEP_1)
	v_add_nc_u32_e32 v8, 1, v4
	s_wait_alu 0xfffd
	v_dual_cndmask_b32 v7, v4, v8 :: v_dual_mov_b32 v8, v3
.LBB0_6:                                ;   in Loop: Header=BB0_2 Depth=1
	s_wait_alu 0xfffe
	s_or_b32 exec_lo, exec_lo, s2
	s_load_b64 s[22:23], s[14:15], 0x0
	s_delay_alu instid0(VALU_DEP_1)
	v_mul_lo_u32 v4, v8, s20
	v_mul_lo_u32 v11, v7, s21
	v_mad_co_u64_u32 v[9:10], null, v7, s20, 0
	s_add_nc_u64 s[16:17], s[16:17], 1
	s_add_nc_u64 s[14:15], s[14:15], 8
	s_wait_alu 0xfffe
	v_cmp_ge_u64_e64 s2, s[16:17], s[6:7]
	s_add_nc_u64 s[18:19], s[18:19], 8
	s_delay_alu instid0(VALU_DEP_2) | instskip(NEXT) | instid1(VALU_DEP_3)
	v_add3_u32 v4, v10, v11, v4
	v_sub_co_u32 v5, vcc_lo, v5, v9
	s_wait_alu 0xfffd
	s_delay_alu instid0(VALU_DEP_2) | instskip(SKIP_3) | instid1(VALU_DEP_2)
	v_sub_co_ci_u32_e32 v4, vcc_lo, v6, v4, vcc_lo
	s_and_b32 vcc_lo, exec_lo, s2
	s_wait_kmcnt 0x0
	v_mul_lo_u32 v6, s23, v5
	v_mul_lo_u32 v4, s22, v4
	v_mad_co_u64_u32 v[1:2], null, s22, v5, v[1:2]
	s_delay_alu instid0(VALU_DEP_1)
	v_add3_u32 v2, v6, v2, v4
	s_wait_alu 0xfffe
	s_cbranch_vccnz .LBB0_9
; %bb.7:                                ;   in Loop: Header=BB0_2 Depth=1
	v_dual_mov_b32 v5, v7 :: v_dual_mov_b32 v6, v8
	s_branch .LBB0_2
.LBB0_8:
	v_dual_mov_b32 v8, v6 :: v_dual_mov_b32 v7, v5
.LBB0_9:
	s_lshl_b64 s[2:3], s[6:7], 3
	v_mul_hi_u32 v3, 0x5050506, v0
	s_wait_alu 0xfffe
	s_add_nc_u64 s[2:3], s[12:13], s[2:3]
                                        ; implicit-def: $vgpr10_vgpr11
                                        ; implicit-def: $vgpr18_vgpr19
                                        ; implicit-def: $vgpr22_vgpr23
                                        ; implicit-def: $vgpr30_vgpr31
                                        ; implicit-def: $vgpr38_vgpr39
                                        ; implicit-def: $vgpr26_vgpr27
                                        ; implicit-def: $vgpr34_vgpr35
                                        ; implicit-def: $vgpr42_vgpr43
                                        ; implicit-def: $vgpr66_vgpr67
                                        ; implicit-def: $vgpr50_vgpr51
                                        ; implicit-def: $vgpr54_vgpr55
                                        ; implicit-def: $vgpr58_vgpr59
                                        ; implicit-def: $vgpr62_vgpr63
                                        ; implicit-def: $vgpr46_vgpr47
                                        ; implicit-def: $vgpr14_vgpr15
	s_load_b64 s[2:3], s[2:3], 0x0
	s_load_b64 s[0:1], s[0:1], 0x20
	s_delay_alu instid0(VALU_DEP_1) | instskip(NEXT) | instid1(VALU_DEP_1)
	v_mul_u32_u24_e32 v3, 51, v3
	v_sub_nc_u32_e32 v124, v0, v3
	s_wait_kmcnt 0x0
	v_mul_lo_u32 v4, s2, v8
	v_mul_lo_u32 v5, s3, v7
	v_mad_co_u64_u32 v[1:2], null, s2, v7, v[1:2]
	v_cmp_gt_u64_e32 vcc_lo, s[0:1], v[7:8]
	v_cmp_gt_u32_e64 s0, 48, v124
                                        ; implicit-def: $vgpr6_vgpr7
	s_delay_alu instid0(VALU_DEP_1) | instskip(NEXT) | instid1(VALU_DEP_3)
	s_and_b32 s1, vcc_lo, s0
	v_add3_u32 v2, v5, v2, v4
	s_delay_alu instid0(VALU_DEP_1)
	v_lshlrev_b64_e32 v[126:127], 4, v[1:2]
                                        ; implicit-def: $vgpr2_vgpr3
	s_wait_alu 0xfffe
	s_and_saveexec_b32 s2, s1
	s_cbranch_execz .LBB0_11
; %bb.10:
	v_add_nc_u32_e32 v9, 48, v124
	v_mad_co_u64_u32 v[0:1], null, s8, v124, 0
	v_add_nc_u32_e32 v11, 0x60, v124
	v_add_co_u32 v21, s1, s10, v126
	s_delay_alu instid0(VALU_DEP_4)
	v_mad_co_u64_u32 v[2:3], null, s8, v9, 0
	v_add_nc_u32_e32 v12, 0x90, v124
	s_wait_alu 0xf1ff
	v_add_co_ci_u32_e64 v22, s1, s11, v127, s1
	v_or_b32_e32 v16, 0xc0, v124
	v_or_b32_e32 v20, 0x180, v124
	;; [unrolled: 1-line block ×3, first 2 shown]
	v_mad_co_u64_u32 v[4:5], null, s9, v124, v[1:2]
	v_mov_b32_e32 v1, v3
	v_mad_co_u64_u32 v[5:6], null, s8, v11, 0
	v_mad_co_u64_u32 v[7:8], null, s8, v12, 0
	s_delay_alu instid0(VALU_DEP_3) | instskip(SKIP_1) | instid1(VALU_DEP_4)
	v_mad_co_u64_u32 v[9:10], null, s9, v9, v[1:2]
	v_mov_b32_e32 v1, v4
	v_dual_mov_b32 v4, v6 :: v_dual_add_nc_u32 v23, 0x2d0, v124
	s_delay_alu instid0(VALU_DEP_2) | instskip(NEXT) | instid1(VALU_DEP_4)
	v_lshlrev_b64_e32 v[0:1], 4, v[0:1]
	v_mov_b32_e32 v3, v9
	s_delay_alu instid0(VALU_DEP_3) | instskip(SKIP_1) | instid1(VALU_DEP_3)
	v_mad_co_u64_u32 v[9:10], null, s9, v11, v[4:5]
	v_mad_co_u64_u32 v[10:11], null, s8, v16, 0
	v_lshlrev_b64_e32 v[2:3], 4, v[2:3]
	v_add_co_u32 v0, s1, v21, v0
	s_wait_alu 0xf1ff
	v_add_co_ci_u32_e64 v1, s1, v22, v1, s1
	v_mov_b32_e32 v6, v9
	s_delay_alu instid0(VALU_DEP_4)
	v_add_co_u32 v2, s1, v21, v2
	v_mad_co_u64_u32 v[8:9], null, s9, v12, v[8:9]
	v_add_nc_u32_e32 v9, 0xf0, v124
	s_wait_alu 0xf1ff
	v_add_co_ci_u32_e64 v3, s1, v22, v3, s1
	s_clause 0x1
	global_load_b128 v[12:15], v[0:1], off
	global_load_b128 v[44:47], v[2:3], off
	v_mad_co_u64_u32 v[3:4], null, s8, v9, 0
	v_mov_b32_e32 v2, v11
	v_lshlrev_b64_e32 v[0:1], 4, v[5:6]
	s_delay_alu instid0(VALU_DEP_2) | instskip(NEXT) | instid1(VALU_DEP_4)
	v_mad_co_u64_u32 v[5:6], null, s9, v16, v[2:3]
	v_mov_b32_e32 v2, v4
	v_lshlrev_b64_e32 v[6:7], 4, v[7:8]
	v_add_nc_u32_e32 v18, 0x120, v124
	v_add_co_u32 v0, s1, v21, v0
	s_wait_alu 0xf1ff
	v_add_co_ci_u32_e64 v1, s1, v22, v1, s1
	v_mov_b32_e32 v11, v5
	v_mad_co_u64_u32 v[4:5], null, s9, v9, v[2:3]
	v_mad_co_u64_u32 v[8:9], null, s8, v18, 0
	v_add_co_u32 v5, s1, v21, v6
	s_wait_alu 0xf1ff
	v_add_co_ci_u32_e64 v6, s1, v22, v7, s1
	v_add_nc_u32_e32 v7, 0x150, v124
	v_lshlrev_b64_e32 v[10:11], 4, v[10:11]
	v_mov_b32_e32 v2, v9
	v_lshlrev_b64_e32 v[3:4], 4, v[3:4]
	s_delay_alu instid0(VALU_DEP_4) | instskip(NEXT) | instid1(VALU_DEP_4)
	v_mad_co_u64_u32 v[16:17], null, s8, v7, 0
	v_add_co_u32 v10, s1, v21, v10
	s_delay_alu instid0(VALU_DEP_3) | instskip(SKIP_2) | instid1(VALU_DEP_4)
	v_mad_co_u64_u32 v[18:19], null, s9, v18, v[2:3]
	s_wait_alu 0xf1ff
	v_add_co_ci_u32_e64 v11, s1, v22, v11, s1
	v_mov_b32_e32 v2, v17
	v_add_co_u32 v3, s1, v21, v3
	s_wait_alu 0xf1ff
	v_add_co_ci_u32_e64 v4, s1, v22, v4, s1
	v_mov_b32_e32 v9, v18
	s_delay_alu instid0(VALU_DEP_3)
	v_mad_co_u64_u32 v[17:18], null, s9, v7, v[2:3]
	v_mad_co_u64_u32 v[18:19], null, s8, v20, 0
	s_clause 0x3
	global_load_b128 v[60:63], v[0:1], off
	global_load_b128 v[56:59], v[5:6], off
	;; [unrolled: 1-line block ×4, first 2 shown]
	v_add_nc_u32_e32 v10, 0x1b0, v124
	v_lshlrev_b64_e32 v[0:1], 4, v[8:9]
	v_lshlrev_b64_e32 v[5:6], 4, v[16:17]
	v_add_nc_u32_e32 v16, 0x1e0, v124
	s_delay_alu instid0(VALU_DEP_4) | instskip(SKIP_4) | instid1(VALU_DEP_3)
	v_mad_co_u64_u32 v[3:4], null, s8, v10, 0
	v_mov_b32_e32 v2, v19
	v_add_co_u32 v0, s1, v21, v0
	s_wait_alu 0xf1ff
	v_add_co_ci_u32_e64 v1, s1, v22, v1, s1
	v_mad_co_u64_u32 v[7:8], null, s9, v20, v[2:3]
	v_mov_b32_e32 v2, v4
	v_add_co_u32 v4, s1, v21, v5
	v_mad_co_u64_u32 v[8:9], null, s8, v16, 0
	s_wait_alu 0xf1ff
	v_add_co_ci_u32_e64 v5, s1, v22, v6, s1
	v_mov_b32_e32 v19, v7
	v_mad_co_u64_u32 v[6:7], null, s9, v10, v[2:3]
	v_add_nc_u32_e32 v20, 0x210, v124
	v_mov_b32_e32 v2, v9
	s_clause 0x1
	global_load_b128 v[64:67], v[0:1], off
	global_load_b128 v[40:43], v[4:5], off
	v_lshlrev_b64_e32 v[0:1], 4, v[18:19]
	v_add_nc_u32_e32 v18, 0x270, v124
	v_mad_co_u64_u32 v[10:11], null, s8, v20, 0
	v_mov_b32_e32 v4, v6
	v_mad_co_u64_u32 v[16:17], null, s9, v16, v[2:3]
	v_add_co_u32 v0, s1, v21, v0
	s_delay_alu instid0(VALU_DEP_3)
	v_lshlrev_b64_e32 v[3:4], 4, v[3:4]
	v_mov_b32_e32 v2, v11
	s_wait_alu 0xf1ff
	v_add_co_ci_u32_e64 v1, s1, v22, v1, s1
	v_mov_b32_e32 v9, v16
	v_or_b32_e32 v16, 0x240, v124
	v_mad_co_u64_u32 v[5:6], null, s9, v20, v[2:3]
	v_add_co_u32 v2, s1, v21, v3
	s_delay_alu instid0(VALU_DEP_4) | instskip(NEXT) | instid1(VALU_DEP_4)
	v_lshlrev_b64_e32 v[6:7], 4, v[8:9]
	v_mad_co_u64_u32 v[8:9], null, s8, v16, 0
	s_wait_alu 0xf1ff
	v_add_co_ci_u32_e64 v3, s1, v22, v4, s1
	v_mov_b32_e32 v11, v5
	s_clause 0x1
	global_load_b128 v[32:35], v[0:1], off
	global_load_b128 v[24:27], v[2:3], off
	v_add_nc_u32_e32 v20, 0x2a0, v124
	v_mov_b32_e32 v2, v9
	v_lshlrev_b64_e32 v[3:4], 4, v[10:11]
	v_add_co_u32 v0, s1, v21, v6
	s_wait_alu 0xf1ff
	v_add_co_ci_u32_e64 v1, s1, v22, v7, s1
	v_mad_co_u64_u32 v[10:11], null, s8, v20, 0
	s_delay_alu instid0(VALU_DEP_4) | instskip(SKIP_4) | instid1(VALU_DEP_4)
	v_mad_co_u64_u32 v[5:6], null, s9, v16, v[2:3]
	v_mad_co_u64_u32 v[6:7], null, s8, v18, 0
	v_add_co_u32 v2, s1, v21, v3
	s_wait_alu 0xf1ff
	v_add_co_ci_u32_e64 v3, s1, v22, v4, s1
	v_mov_b32_e32 v9, v5
	s_delay_alu instid0(VALU_DEP_4)
	v_dual_mov_b32 v5, v11 :: v_dual_mov_b32 v4, v7
	v_mad_co_u64_u32 v[16:17], null, s8, v23, 0
	s_clause 0x1
	global_load_b128 v[36:39], v[0:1], off
	global_load_b128 v[28:31], v[2:3], off
	v_lshlrev_b64_e32 v[1:2], 4, v[8:9]
	v_mad_co_u64_u32 v[18:19], null, s9, v18, v[4:5]
	v_mad_co_u64_u32 v[4:5], null, s9, v20, v[5:6]
	v_mad_co_u64_u32 v[19:20], null, s8, v68, 0
	s_delay_alu instid0(VALU_DEP_3) | instskip(NEXT) | instid1(VALU_DEP_3)
	v_dual_mov_b32 v0, v17 :: v_dual_mov_b32 v7, v18
	v_mov_b32_e32 v11, v4
	s_delay_alu instid0(VALU_DEP_2) | instskip(NEXT) | instid1(VALU_DEP_4)
	v_mad_co_u64_u32 v[3:4], null, s9, v23, v[0:1]
	v_mov_b32_e32 v0, v20
	v_add_co_u32 v1, s1, v21, v1
	v_lshlrev_b64_e32 v[4:5], 4, v[6:7]
	s_wait_alu 0xf1ff
	v_add_co_ci_u32_e64 v2, s1, v22, v2, s1
	s_delay_alu instid0(VALU_DEP_3)
	v_mad_co_u64_u32 v[6:7], null, s9, v68, v[0:1]
	v_lshlrev_b64_e32 v[7:8], 4, v[10:11]
	v_mov_b32_e32 v17, v3
	v_add_co_u32 v3, s1, v21, v4
	s_wait_alu 0xf1ff
	v_add_co_ci_u32_e64 v4, s1, v22, v5, s1
	v_mov_b32_e32 v20, v6
	v_lshlrev_b64_e32 v[9:10], 4, v[16:17]
	v_add_co_u32 v5, s1, v21, v7
	s_wait_alu 0xf1ff
	v_add_co_ci_u32_e64 v6, s1, v22, v8, s1
	v_lshlrev_b64_e32 v[7:8], 4, v[19:20]
	s_delay_alu instid0(VALU_DEP_4) | instskip(SKIP_2) | instid1(VALU_DEP_3)
	v_add_co_u32 v68, s1, v21, v9
	s_wait_alu 0xf1ff
	v_add_co_ci_u32_e64 v69, s1, v22, v10, s1
	v_add_co_u32 v70, s1, v21, v7
	s_wait_alu 0xf1ff
	v_add_co_ci_u32_e64 v71, s1, v22, v8, s1
	s_clause 0x4
	global_load_b128 v[20:23], v[1:2], off
	global_load_b128 v[16:19], v[3:4], off
	;; [unrolled: 1-line block ×5, first 2 shown]
.LBB0_11:
	s_wait_alu 0xfffe
	s_or_b32 exec_lo, exec_lo, s2
	s_wait_loadcnt 0x0
	v_add_f64_e32 v[98:99], v[0:1], v[44:45]
	s_mov_b32 s2, 0x370991
	s_mov_b32 s3, 0x3fedd6d0
	v_add_f64_e64 v[114:115], v[46:47], -v[2:3]
	v_add_f64_e32 v[94:95], v[4:5], v[60:61]
	s_mov_b32 s20, 0x5d8e7cdc
	s_mov_b32 s6, 0x75d4884
	s_mov_b32 s21, 0xbfd71e95
	s_mov_b32 s7, 0x3fe7a5f6
	v_add_f64_e64 v[112:113], v[62:63], -v[6:7]
	v_add_f64_e32 v[90:91], v[8:9], v[56:57]
	s_mov_b32 s24, 0x2a9d6da3
	s_mov_b32 s12, 0x2b2883cd
	;; [unrolled: 6-line block ×5, first 2 shown]
	s_mov_b32 s35, 0xbfeec746
	s_mov_b32 s19, 0xbfe348c8
	v_add_f64_e64 v[92:93], v[66:67], -v[30:31]
	s_mov_b32 s36, 0x6c9a05f6
	s_mov_b32 s22, 0x910ea3b9
	;; [unrolled: 1-line block ×4, first 2 shown]
	s_wait_alu 0xfffe
	v_mul_f64_e32 v[106:107], s[2:3], v[98:99]
	v_add_f64_e64 v[84:85], v[42:43], -v[38:39]
	s_mov_b32 s40, 0x4363dd80
	s_mov_b32 s26, 0x7faef3
	v_mul_f64_e32 v[108:109], s[6:7], v[94:95]
	s_mov_b32 s41, 0xbfe0d888
	s_mov_b32 s27, 0xbfef7484
	v_add_f64_e64 v[78:79], v[34:35], -v[26:27]
	s_mov_b32 s38, 0xacd6c6b4
	s_mov_b32 s39, 0xbfc7851a
	v_mul_f64_e32 v[104:105], s[12:13], v[90:91]
	v_mul_f64_e32 v[96:97], s[14:15], v[86:87]
	;; [unrolled: 1-line block ×4, first 2 shown]
	v_fma_f64 v[68:69], v[114:115], s[20:21], v[106:107]
	v_fma_f64 v[70:71], v[112:113], s[24:25], v[108:109]
	;; [unrolled: 1-line block ×5, first 2 shown]
	v_add_f64_e32 v[68:69], v[12:13], v[68:69]
	s_delay_alu instid0(VALU_DEP_1) | instskip(SKIP_1) | instid1(VALU_DEP_2)
	v_add_f64_e32 v[68:69], v[70:71], v[68:69]
	v_add_f64_e32 v[70:71], v[36:37], v[40:41]
	;; [unrolled: 1-line block ×3, first 2 shown]
	v_fma_f64 v[72:73], v[102:103], s[34:35], v[88:89]
	s_delay_alu instid0(VALU_DEP_2) | instskip(NEXT) | instid1(VALU_DEP_4)
	v_add_f64_e32 v[68:69], v[74:75], v[68:69]
	v_mul_f64_e32 v[74:75], s[22:23], v[70:71]
	s_delay_alu instid0(VALU_DEP_2) | instskip(SKIP_1) | instid1(VALU_DEP_3)
	v_add_f64_e32 v[72:73], v[72:73], v[68:69]
	v_add_f64_e32 v[68:69], v[24:25], v[32:33]
	v_fma_f64 v[118:119], v[84:85], s[40:41], v[74:75]
	s_delay_alu instid0(VALU_DEP_3) | instskip(SKIP_1) | instid1(VALU_DEP_3)
	v_add_f64_e32 v[116:117], v[116:117], v[72:73]
	s_wait_alu 0xfffe
	v_mul_f64_e32 v[72:73], s[26:27], v[68:69]
	s_delay_alu instid0(VALU_DEP_2) | instskip(NEXT) | instid1(VALU_DEP_2)
	v_add_f64_e32 v[116:117], v[118:119], v[116:117]
	v_fma_f64 v[118:119], v[78:79], s[38:39], v[72:73]
	s_delay_alu instid0(VALU_DEP_1)
	v_add_f64_e32 v[128:129], v[118:119], v[116:117]
	s_and_saveexec_b32 s1, s0
	s_cbranch_execz .LBB0_13
; %bb.12:
	v_add_f64_e32 v[116:117], v[44:45], v[12:13]
	v_mul_f64_e32 v[118:119], s[38:39], v[114:115]
	v_mul_f64_e32 v[120:121], s[40:41], v[114:115]
	;; [unrolled: 1-line block ×8, first 2 shown]
	s_mov_b32 s43, 0x3fd71e95
	s_mov_b32 s42, s20
	;; [unrolled: 1-line block ×8, first 2 shown]
	v_mul_f64_e32 v[144:145], s[38:39], v[112:113]
	v_mul_f64_e32 v[146:147], s[36:37], v[112:113]
	;; [unrolled: 1-line block ×8, first 2 shown]
	s_mov_b32 s45, 0x3fe58eea
	s_mov_b32 s44, s24
	;; [unrolled: 1-line block ×4, first 2 shown]
	v_mul_f64_e32 v[150:151], s[40:41], v[110:111]
	v_mul_f64_e32 v[152:153], s[30:31], v[110:111]
	;; [unrolled: 1-line block ×8, first 2 shown]
	s_mov_b32 s49, 0x3fe9895b
	v_add_f64_e32 v[116:117], v[60:61], v[116:117]
	v_fma_f64 v[160:161], v[98:99], s[26:27], v[118:119]
	v_fma_f64 v[118:119], v[98:99], s[26:27], -v[118:119]
	v_fma_f64 v[170:171], v[98:99], s[22:23], v[120:121]
	v_fma_f64 v[120:121], v[98:99], s[22:23], -v[120:121]
	;; [unrolled: 2-line block ×4, first 2 shown]
	v_fma_f64 v[176:177], v[98:99], s[14:15], -v[132:133]
	v_fma_f64 v[132:133], v[98:99], s[14:15], v[132:133]
	v_fma_f64 v[178:179], v[98:99], s[12:13], v[134:135]
	v_fma_f64 v[134:135], v[98:99], s[12:13], -v[134:135]
	v_fma_f64 v[180:181], v[98:99], s[6:7], v[136:137]
	v_add_f64_e64 v[106:107], v[106:107], -v[114:115]
	v_fma_f64 v[98:99], v[98:99], s[6:7], -v[136:137]
	s_mov_b32 s48, s36
	v_fma_f64 v[190:191], v[94:95], s[26:27], v[144:145]
	v_fma_f64 v[144:145], v[94:95], s[26:27], -v[144:145]
	v_fma_f64 v[192:193], v[94:95], s[18:19], v[146:147]
	v_fma_f64 v[146:147], v[94:95], s[18:19], -v[146:147]
	;; [unrolled: 2-line block ×3, first 2 shown]
	v_add_f64_e64 v[108:109], v[108:109], -v[154:155]
	v_fma_f64 v[154:155], v[94:95], s[2:3], v[156:157]
	v_fma_f64 v[156:157], v[94:95], s[2:3], -v[156:157]
	v_fma_f64 v[196:197], v[94:95], s[12:13], v[158:159]
	v_fma_f64 v[158:159], v[94:95], s[12:13], -v[158:159]
	;; [unrolled: 2-line block ×4, first 2 shown]
	v_mul_f64_e32 v[138:139], s[40:41], v[100:101]
	v_mul_f64_e32 v[140:141], s[28:29], v[100:101]
	;; [unrolled: 1-line block ×4, first 2 shown]
	v_fma_f64 v[202:203], v[90:91], s[14:15], v[152:153]
	v_fma_f64 v[152:153], v[90:91], s[14:15], -v[152:153]
	v_add_f64_e32 v[116:117], v[56:57], v[116:117]
	v_add_f64_e32 v[160:161], v[12:13], v[160:161]
	;; [unrolled: 1-line block ×16, first 2 shown]
	v_fma_f64 v[180:181], v[90:91], s[22:23], v[150:151]
	v_fma_f64 v[150:151], v[90:91], s[22:23], -v[150:151]
	v_fma_f64 v[204:205], v[90:91], s[2:3], v[162:163]
	v_fma_f64 v[162:163], v[90:91], s[2:3], -v[162:163]
	;; [unrolled: 2-line block ×3, first 2 shown]
	v_add_f64_e64 v[104:105], v[104:105], -v[182:183]
	v_fma_f64 v[182:183], v[90:91], s[6:7], v[186:187]
	v_fma_f64 v[186:187], v[90:91], s[6:7], -v[186:187]
	v_fma_f64 v[208:209], v[90:91], s[16:17], v[188:189]
	v_fma_f64 v[188:189], v[90:91], s[16:17], -v[188:189]
	;; [unrolled: 2-line block ×3, first 2 shown]
	v_mul_f64_e32 v[110:111], s[48:49], v[100:101]
	s_mov_b32 s51, 0x3fefdd0d
	s_mov_b32 s50, s30
	v_mul_f64_e32 v[136:137], s[34:35], v[102:103]
	v_mul_f64_e32 v[168:169], s[40:41], v[84:85]
	v_add_f64_e64 v[96:97], v[96:97], -v[184:185]
	v_add_f64_e32 v[116:117], v[52:53], v[116:117]
	v_add_f64_e32 v[154:155], v[154:155], v[160:161]
	v_mul_f64_e32 v[160:161], s[42:43], v[100:101]
	v_add_f64_e32 v[118:119], v[156:157], v[118:119]
	v_add_f64_e32 v[112:113], v[196:197], v[112:113]
	v_add_f64_e32 v[120:121], v[158:159], v[120:121]
	v_add_f64_e32 v[158:159], v[198:199], v[170:171]
	v_add_f64_e32 v[122:123], v[164:165], v[122:123]
	v_add_f64_e32 v[94:95], v[94:95], v[130:131]
	v_add_f64_e32 v[130:131], v[144:145], v[174:175]
	v_add_f64_e32 v[164:165], v[200:201], v[172:173]
	v_add_f64_e32 v[132:133], v[190:191], v[132:133]
	v_add_f64_e32 v[144:145], v[192:193], v[176:177]
	v_add_f64_e32 v[134:135], v[146:147], v[134:135]
	v_add_f64_e32 v[146:147], v[194:195], v[178:179]
	v_add_f64_e32 v[12:13], v[148:149], v[12:13]
	v_add_f64_e32 v[106:107], v[108:109], v[106:107]
	v_mul_f64_e32 v[156:157], s[36:37], v[102:103]
	v_mul_f64_e32 v[108:109], s[20:21], v[102:103]
	;; [unrolled: 1-line block ×4, first 2 shown]
	s_wait_alu 0xfffe
	v_mul_f64_e32 v[174:175], s[50:51], v[102:103]
	v_mul_f64_e32 v[176:177], s[44:45], v[102:103]
	;; [unrolled: 1-line block ×3, first 2 shown]
	v_fma_f64 v[178:179], v[86:87], s[22:23], v[138:139]
	v_fma_f64 v[138:139], v[86:87], s[22:23], -v[138:139]
	v_fma_f64 v[190:191], v[86:87], s[12:13], v[140:141]
	v_fma_f64 v[140:141], v[86:87], s[12:13], -v[140:141]
	;; [unrolled: 2-line block ×4, first 2 shown]
	v_mul_f64_e32 v[172:173], s[38:39], v[92:93]
	v_add_f64_e64 v[88:89], v[88:89], -v[136:137]
	v_add_f64_e64 v[74:75], v[74:75], -v[168:169]
	v_add_f64_e32 v[116:117], v[48:49], v[116:117]
	v_fma_f64 v[196:197], v[86:87], s[2:3], v[160:161]
	v_fma_f64 v[160:161], v[86:87], s[2:3], -v[160:161]
	v_add_f64_e32 v[118:119], v[150:151], v[118:119]
	v_add_f64_e32 v[112:113], v[202:203], v[112:113]
	;; [unrolled: 1-line block ×14, first 2 shown]
	v_mul_f64_e32 v[106:107], s[24:25], v[92:93]
	v_mul_f64_e32 v[146:147], s[40:41], v[92:93]
	;; [unrolled: 1-line block ×4, first 2 shown]
	v_fma_f64 v[136:137], v[80:81], s[18:19], v[156:157]
	v_fma_f64 v[156:157], v[80:81], s[18:19], -v[156:157]
	v_fma_f64 v[166:167], v[80:81], s[2:3], v[108:109]
	v_fma_f64 v[108:109], v[80:81], s[2:3], -v[108:109]
	v_fma_f64 v[182:183], v[80:81], s[12:13], v[170:171]
	v_fma_f64 v[170:171], v[80:81], s[12:13], -v[170:171]
	v_fma_f64 v[186:187], v[80:81], s[14:15], v[174:175]
	v_fma_f64 v[174:175], v[80:81], s[14:15], -v[174:175]
	v_fma_f64 v[188:189], v[80:81], s[6:7], v[176:177]
	v_fma_f64 v[176:177], v[80:81], s[6:7], -v[176:177]
	v_fma_f64 v[200:201], v[80:81], s[22:23], v[102:103]
	v_mul_f64_e32 v[158:159], s[34:35], v[84:85]
	v_add_f64_e32 v[116:117], v[64:65], v[116:117]
	v_add_f64_e32 v[112:113], v[194:195], v[112:113]
	;; [unrolled: 1-line block ×4, first 2 shown]
	v_mul_f64_e32 v[140:141], s[34:35], v[78:79]
	v_add_f64_e32 v[120:121], v[190:191], v[152:153]
	v_add_f64_e32 v[12:13], v[142:143], v[12:13]
	;; [unrolled: 1-line block ×3, first 2 shown]
	v_mul_f64_e32 v[104:105], s[38:39], v[84:85]
	v_mul_f64_e32 v[142:143], s[44:45], v[84:85]
	v_fma_f64 v[152:153], v[76:77], s[6:7], v[106:107]
	v_fma_f64 v[106:107], v[76:77], s[6:7], -v[106:107]
	v_add_f64_e32 v[116:117], v[40:41], v[116:117]
	v_add_f64_e32 v[108:109], v[108:109], v[110:111]
	;; [unrolled: 1-line block ×3, first 2 shown]
	v_mul_f64_e32 v[96:97], s[36:37], v[78:79]
	s_delay_alu instid0(VALU_DEP_4) | instskip(SKIP_1) | instid1(VALU_DEP_2)
	v_add_f64_e32 v[114:115], v[32:33], v[116:117]
	v_mul_f64_e32 v[116:117], s[36:37], v[92:93]
	v_add_f64_e32 v[98:99], v[24:25], v[114:115]
	v_mul_f64_e32 v[114:115], s[44:45], v[100:101]
	v_mul_f64_e32 v[100:101], s[52:53], v[100:101]
	s_delay_alu instid0(VALU_DEP_4)
	v_add_f64_e64 v[82:83], v[82:83], -v[116:117]
	v_fma_f64 v[116:117], v[76:77], s[26:27], v[172:173]
	v_add_f64_e32 v[98:99], v[36:37], v[98:99]
	v_fma_f64 v[184:185], v[86:87], s[6:7], v[114:115]
	v_fma_f64 v[114:115], v[86:87], s[6:7], -v[114:115]
	v_fma_f64 v[198:199], v[86:87], s[16:17], v[100:101]
	v_fma_f64 v[86:87], v[86:87], s[16:17], -v[100:101]
	v_add_f64_e32 v[100:101], v[180:181], v[154:155]
	v_mul_f64_e32 v[154:155], s[20:21], v[92:93]
	v_mul_f64_e32 v[92:93], s[52:53], v[92:93]
	v_fma_f64 v[180:181], v[80:81], s[26:27], v[148:149]
	v_fma_f64 v[148:149], v[80:81], s[26:27], -v[148:149]
	v_fma_f64 v[80:81], v[80:81], s[22:23], -v[102:103]
	v_add_f64_e32 v[82:83], v[82:83], v[88:89]
	v_fma_f64 v[88:89], v[68:69], s[16:17], -v[140:141]
	v_add_f64_e32 v[98:99], v[28:29], v[98:99]
	v_add_f64_e32 v[102:103], v[114:115], v[118:119]
	;; [unrolled: 1-line block ×10, first 2 shown]
	v_mul_f64_e32 v[134:135], s[20:21], v[84:85]
	v_mul_f64_e32 v[138:139], s[30:31], v[84:85]
	;; [unrolled: 1-line block ×4, first 2 shown]
	v_fma_f64 v[150:151], v[76:77], s[26:27], -v[172:173]
	v_fma_f64 v[160:161], v[76:77], s[22:23], v[146:147]
	v_fma_f64 v[146:147], v[76:77], s[22:23], -v[146:147]
	v_fma_f64 v[172:173], v[76:77], s[2:3], v[154:155]
	;; [unrolled: 2-line block ×5, first 2 shown]
	v_fma_f64 v[76:77], v[76:77], s[16:17], -v[92:93]
	v_add_f64_e32 v[94:95], v[148:149], v[94:95]
	v_add_f64_e32 v[12:13], v[80:81], v[12:13]
	v_mul_f64_e32 v[148:149], s[44:45], v[78:79]
	v_add_f64_e32 v[74:75], v[74:75], v[82:83]
	v_add_f64_e32 v[98:99], v[20:21], v[98:99]
	;; [unrolled: 1-line block ×13, first 2 shown]
	v_mul_f64_e32 v[130:131], s[38:39], v[78:79]
	v_mul_f64_e32 v[132:133], s[50:51], v[78:79]
	;; [unrolled: 1-line block ×3, first 2 shown]
	v_fma_f64 v[156:157], v[70:71], s[16:17], v[158:159]
	v_fma_f64 v[158:159], v[70:71], s[16:17], -v[158:159]
	v_fma_f64 v[166:167], v[70:71], s[26:27], v[104:105]
	v_fma_f64 v[104:105], v[70:71], s[26:27], -v[104:105]
	;; [unrolled: 2-line block ×7, first 2 shown]
	v_add_f64_e32 v[94:95], v[164:165], v[94:95]
	v_add_f64_e32 v[12:13], v[76:77], v[12:13]
	;; [unrolled: 1-line block ×3, first 2 shown]
	v_mul_f64_e32 v[98:99], s[40:41], v[78:79]
	v_mul_f64_e32 v[78:79], s[42:43], v[78:79]
	v_add_f64_e32 v[84:85], v[178:179], v[92:93]
	v_add_f64_e32 v[92:93], v[162:163], v[100:101]
	v_add_f64_e32 v[100:101], v[116:117], v[102:103]
	v_add_f64_e32 v[102:103], v[150:151], v[108:109]
	v_add_f64_e32 v[108:109], v[152:153], v[110:111]
	v_add_f64_e32 v[106:107], v[106:107], v[112:113]
	v_add_f64_e32 v[112:113], v[146:147], v[118:119]
	v_add_f64_e32 v[110:111], v[184:185], v[114:115]
	v_add_f64_e32 v[114:115], v[160:161], v[120:121]
	v_add_f64_e32 v[116:117], v[172:173], v[122:123]
	v_add_f64_e32 v[90:91], v[190:191], v[90:91]
	v_add_f64_e32 v[86:87], v[154:155], v[86:87]
	v_fma_f64 v[118:119], v[68:69], s[18:19], v[96:97]
	v_fma_f64 v[96:97], v[68:69], s[18:19], -v[96:97]
	v_add_f64_e64 v[72:73], v[72:73], -v[130:131]
	v_fma_f64 v[122:123], v[68:69], s[14:15], v[132:133]
	v_fma_f64 v[130:131], v[68:69], s[14:15], -v[132:133]
	v_fma_f64 v[132:133], v[68:69], s[12:13], v[136:137]
	v_fma_f64 v[136:137], v[68:69], s[12:13], -v[136:137]
	v_fma_f64 v[146:147], v[68:69], s[6:7], -v[148:149]
	v_add_f64_e32 v[94:95], v[134:135], v[94:95]
	v_add_f64_e32 v[12:13], v[70:71], v[12:13]
	;; [unrolled: 1-line block ×3, first 2 shown]
	v_fma_f64 v[80:81], v[68:69], s[16:17], v[140:141]
	v_fma_f64 v[120:121], v[68:69], s[22:23], v[98:99]
	v_fma_f64 v[98:99], v[68:69], s[22:23], -v[98:99]
	v_fma_f64 v[140:141], v[68:69], s[6:7], v[148:149]
	v_fma_f64 v[148:149], v[68:69], s[2:3], v[78:79]
	v_fma_f64 v[68:69], v[68:69], s[2:3], -v[78:79]
	v_add_f64_e32 v[78:79], v[156:157], v[84:85]
	v_add_f64_e32 v[84:85], v[158:159], v[92:93]
	;; [unrolled: 1-line block ×29, first 2 shown]
	v_mad_u32_u24 v70, 0x88, v124, 0
	ds_store_2addr_b64 v70, v[96:97], v[94:95] offset0:4 offset1:5
	ds_store_2addr_b64 v70, v[88:89], v[82:83] offset0:6 offset1:7
	;; [unrolled: 1-line block ×7, first 2 shown]
	ds_store_2addr_b64 v70, v[68:69], v[72:73] offset1:1
	ds_store_b64 v70, v[128:129] offset:128
.LBB0_13:
	s_wait_alu 0xfffe
	s_or_b32 exec_lo, exec_lo, s1
	v_add_f64_e64 v[120:121], v[44:45], -v[0:1]
	v_add_f64_e32 v[110:111], v[2:3], v[46:47]
	v_add_f64_e64 v[118:119], v[60:61], -v[4:5]
	v_add_f64_e32 v[108:109], v[6:7], v[62:63]
	;; [unrolled: 2-line block ×6, first 2 shown]
	v_add_f64_e64 v[40:41], v[40:41], -v[36:37]
	v_lshl_add_u32 v134, v124, 3, 0
	global_wb scope:SCOPE_SE
	s_wait_dscnt 0x0
	s_barrier_signal -1
	s_barrier_wait -1
	global_inv scope:SCOPE_SE
	v_add_nc_u32_e32 v125, 0x800, v134
	v_add_nc_u32_e32 v64, 0xc00, v134
	;; [unrolled: 1-line block ×3, first 2 shown]
	ds_load_2addr_b64 v[84:87], v134 offset1:51
	ds_load_2addr_b64 v[80:83], v125 offset0:152 offset1:203
	ds_load_2addr_b64 v[88:91], v134 offset0:102 offset1:153
	;; [unrolled: 1-line block ×7, first 2 shown]
	global_wb scope:SCOPE_SE
	s_wait_dscnt 0x0
	s_barrier_signal -1
	s_barrier_wait -1
	global_inv scope:SCOPE_SE
	v_mul_f64_e32 v[116:117], s[20:21], v[120:121]
	v_mul_f64_e32 v[112:113], s[24:25], v[118:119]
	;; [unrolled: 1-line block ×7, first 2 shown]
	v_fma_f64 v[0:1], v[110:111], s[2:3], -v[116:117]
	v_fma_f64 v[4:5], v[108:109], s[6:7], -v[112:113]
	v_fma_f64 v[8:9], v[102:103], s[12:13], -v[104:105]
	v_fma_f64 v[16:17], v[44:45], s[16:17], -v[48:49]
	s_delay_alu instid0(VALU_DEP_4) | instskip(NEXT) | instid1(VALU_DEP_1)
	v_add_f64_e32 v[0:1], v[14:15], v[0:1]
	v_add_f64_e32 v[0:1], v[4:5], v[0:1]
	v_fma_f64 v[4:5], v[56:57], s[14:15], -v[60:61]
	s_delay_alu instid0(VALU_DEP_2) | instskip(SKIP_1) | instid1(VALU_DEP_2)
	v_add_f64_e32 v[0:1], v[8:9], v[0:1]
	v_add_f64_e32 v[8:9], v[38:39], v[42:43]
	;; [unrolled: 1-line block ×3, first 2 shown]
	v_fma_f64 v[4:5], v[28:29], s[18:19], -v[36:37]
	s_delay_alu instid0(VALU_DEP_2) | instskip(SKIP_3) | instid1(VALU_DEP_4)
	v_add_f64_e32 v[20:21], v[16:17], v[0:1]
	v_add_f64_e64 v[16:17], v[32:33], -v[24:25]
	v_add_f64_e32 v[0:1], v[26:27], v[34:35]
	v_fma_f64 v[24:25], v[8:9], s[22:23], -v[12:13]
	v_add_f64_e32 v[20:21], v[4:5], v[20:21]
	s_delay_alu instid0(VALU_DEP_4) | instskip(NEXT) | instid1(VALU_DEP_2)
	v_mul_f64_e32 v[4:5], s[38:39], v[16:17]
	v_add_f64_e32 v[20:21], v[24:25], v[20:21]
	s_delay_alu instid0(VALU_DEP_2) | instskip(NEXT) | instid1(VALU_DEP_1)
	v_fma_f64 v[24:25], v[0:1], s[26:27], -v[4:5]
	v_add_f64_e32 v[130:131], v[24:25], v[20:21]
	s_and_saveexec_b32 s33, s0
	s_cbranch_execz .LBB0_15
; %bb.14:
	v_add_f64_e32 v[20:21], v[46:47], v[14:15]
	v_mul_f64_e32 v[32:33], s[18:19], v[28:29]
	s_mov_b32 s34, 0x2a9d6da3
	s_mov_b32 s18, 0x923c349f
	;; [unrolled: 1-line block ×8, first 2 shown]
	v_mul_f64_e32 v[132:133], s[30:31], v[120:121]
	s_wait_alu 0xfffe
	v_mul_f64_e32 v[135:136], s[18:19], v[120:121]
	v_mul_f64_e32 v[137:138], s[20:21], v[120:121]
	;; [unrolled: 1-line block ×3, first 2 shown]
	s_mov_b32 s46, 0x7c9e640b
	v_mul_f64_e32 v[143:144], s[38:39], v[120:121]
	s_mov_b32 s47, 0xbfeca52d
	s_mov_b32 s0, 0x75d4884
	;; [unrolled: 1-line block ×3, first 2 shown]
	v_mul_f64_e32 v[122:123], s[16:17], v[44:45]
	s_mov_b32 s1, 0x3fe7a5f6
	s_mov_b32 s16, 0x910ea3b9
	;; [unrolled: 1-line block ×8, first 2 shown]
	s_wait_alu 0xfffe
	s_mov_b32 s28, s46
	v_mul_f64_e32 v[24:25], s[22:23], v[8:9]
	s_mov_b32 s17, 0xbfeb34fa
	s_mov_b32 s22, 0x7faef3
	;; [unrolled: 1-line block ×3, first 2 shown]
	v_mul_f64_e32 v[145:146], s[20:21], v[118:119]
	v_mul_f64_e32 v[147:148], s[38:39], v[118:119]
	;; [unrolled: 1-line block ×5, first 2 shown]
	v_add_f64_e32 v[20:21], v[62:63], v[20:21]
	v_mul_f64_e32 v[62:63], s[14:15], v[56:57]
	s_mov_b32 s14, 0x6ed5f1bb
	s_mov_b32 s15, 0xbfe348c8
	;; [unrolled: 1-line block ×8, first 2 shown]
	v_mul_f64_e32 v[151:152], s[20:21], v[114:115]
	v_mul_f64_e32 v[157:158], s[30:31], v[114:115]
	s_wait_alu 0xfffe
	v_fma_f64 v[163:164], v[110:111], s[14:15], v[137:138]
	v_fma_f64 v[165:166], v[110:111], s[16:17], v[139:140]
	v_fma_f64 v[137:138], v[110:111], s[14:15], -v[137:138]
	v_fma_f64 v[167:168], v[110:111], s[22:23], v[143:144]
	v_fma_f64 v[143:144], v[110:111], s[22:23], -v[143:144]
	v_fma_f64 v[139:140], v[110:111], s[16:17], -v[139:140]
	v_mul_f64_e32 v[173:174], s[54:55], v[114:115]
	v_mul_f64_e32 v[175:176], s[48:49], v[114:115]
	;; [unrolled: 1-line block ×3, first 2 shown]
	s_mov_b32 s51, 0x3fe9895b
	s_mov_b32 s50, s20
	v_mul_f64_e32 v[171:172], s[40:41], v[106:107]
	v_mul_f64_e32 v[191:192], s[48:49], v[106:107]
	s_wait_alu 0xfffe
	v_mul_f64_e32 v[193:194], s[50:51], v[106:107]
	s_mov_b32 s43, 0x3fefdd0d
	s_mov_b32 s42, s30
	v_add_f64_e32 v[48:49], v[122:123], v[48:49]
	v_add_f64_e32 v[32:33], v[32:33], v[36:37]
	;; [unrolled: 1-line block ×3, first 2 shown]
	v_fma_f64 v[179:180], v[108:109], s[14:15], v[145:146]
	v_fma_f64 v[145:146], v[108:109], s[14:15], -v[145:146]
	v_fma_f64 v[181:182], v[108:109], s[22:23], v[147:148]
	v_fma_f64 v[147:148], v[108:109], s[22:23], -v[147:148]
	v_fma_f64 v[185:186], v[108:109], s[16:17], v[153:154]
	v_add_f64_e32 v[20:21], v[58:59], v[20:21]
	v_mul_f64_e32 v[58:59], s[12:13], v[102:103]
	s_mov_b32 s12, 0xc61f0d01
	s_mov_b32 s13, 0xbfd183b1
	v_fma_f64 v[153:154], v[108:109], s[16:17], -v[153:154]
	s_wait_alu 0xfffe
	v_fma_f64 v[161:162], v[110:111], s[12:13], v[135:136]
	v_fma_f64 v[135:136], v[110:111], s[12:13], -v[135:136]
	v_fma_f64 v[187:188], v[108:109], s[12:13], v[155:156]
	v_fma_f64 v[155:156], v[108:109], s[12:13], -v[155:156]
	v_add_f64_e32 v[60:61], v[62:63], v[60:61]
	v_add_f64_e32 v[137:138], v[14:15], v[137:138]
	;; [unrolled: 1-line block ×4, first 2 shown]
	v_fma_f64 v[199:200], v[102:103], s[22:23], v[173:174]
	v_fma_f64 v[173:174], v[102:103], s[22:23], -v[173:174]
	v_fma_f64 v[201:202], v[102:103], s[12:13], v[175:176]
	v_fma_f64 v[175:176], v[102:103], s[12:13], -v[175:176]
	;; [unrolled: 2-line block ×3, first 2 shown]
	v_add_f64_e32 v[20:21], v[54:55], v[20:21]
	v_mul_f64_e32 v[54:55], s[6:7], v[108:109]
	s_mov_b32 s6, 0x3259b75e
	s_mov_b32 s7, 0x3fb79ee6
	v_add_f64_e32 v[58:59], v[58:59], v[104:105]
	s_wait_alu 0xfffe
	v_fma_f64 v[159:160], v[110:111], s[6:7], v[132:133]
	v_fma_f64 v[132:133], v[110:111], s[6:7], -v[132:133]
	v_add_f64_e32 v[135:136], v[14:15], v[135:136]
	v_fma_f64 v[104:105], v[102:103], s[14:15], v[151:152]
	v_fma_f64 v[151:152], v[102:103], s[14:15], -v[151:152]
	v_fma_f64 v[195:196], v[102:103], s[6:7], v[157:158]
	v_fma_f64 v[157:158], v[102:103], s[6:7], -v[157:158]
	v_add_f64_e32 v[46:47], v[50:51], v[20:21]
	v_mul_f64_e32 v[50:51], s[2:3], v[110:111]
	s_mov_b32 s2, 0x2b2883cd
	s_mov_b32 s3, 0x3fdc86fa
	v_mul_f64_e32 v[20:21], s[26:27], v[0:1]
	s_mov_b32 s26, 0x370991
	s_mov_b32 s27, 0x3fedd6d0
	v_add_f64_e32 v[54:55], v[54:55], v[112:113]
	s_wait_alu 0xfffe
	v_fma_f64 v[183:184], v[108:109], s[26:27], v[149:150]
	v_fma_f64 v[149:150], v[108:109], s[26:27], -v[149:150]
	v_add_f64_e32 v[132:133], v[14:15], v[132:133]
	v_add_f64_e32 v[135:136], v[153:154], v[135:136]
	v_mul_f64_e32 v[153:154], s[42:43], v[100:101]
	v_add_f64_e32 v[46:47], v[66:67], v[46:47]
	v_mul_f64_e32 v[65:66], s[34:35], v[120:121]
	v_mul_f64_e32 v[120:121], s[46:47], v[120:121]
	v_add_f64_e32 v[50:51], v[50:51], v[116:117]
	v_add_f64_e32 v[4:5], v[20:21], v[4:5]
	v_add_f64_e32 v[143:144], v[149:150], v[143:144]
	v_mul_f64_e32 v[149:150], s[36:37], v[100:101]
	v_add_f64_e32 v[42:43], v[42:43], v[46:47]
	v_mul_f64_e32 v[46:47], s[30:31], v[118:119]
	v_mul_f64_e32 v[118:119], s[28:29], v[118:119]
	v_fma_f64 v[116:117], v[110:111], s[0:1], v[65:66]
	v_fma_f64 v[65:66], v[110:111], s[0:1], -v[65:66]
	v_fma_f64 v[169:170], v[110:111], s[2:3], -v[120:121]
	v_add_f64_e32 v[50:51], v[14:15], v[50:51]
	v_add_f64_e32 v[34:35], v[34:35], v[42:43]
	v_fma_f64 v[42:43], v[110:111], s[2:3], v[120:121]
	v_mul_f64_e32 v[110:111], s[24:25], v[114:115]
	v_mul_f64_e32 v[114:115], s[44:45], v[114:115]
	v_fma_f64 v[112:113], v[108:109], s[6:7], v[46:47]
	v_fma_f64 v[46:47], v[108:109], s[6:7], -v[46:47]
	v_fma_f64 v[189:190], v[108:109], s[2:3], v[118:119]
	v_fma_f64 v[108:109], v[108:109], s[2:3], -v[118:119]
	v_add_f64_e32 v[116:117], v[14:15], v[116:117]
	v_add_f64_e32 v[65:66], v[14:15], v[65:66]
	;; [unrolled: 1-line block ×8, first 2 shown]
	v_mul_f64_e32 v[120:121], s[38:39], v[106:107]
	v_add_f64_e32 v[50:51], v[54:55], v[50:51]
	v_mul_f64_e32 v[169:170], s[46:47], v[100:101]
	v_add_f64_e32 v[26:27], v[26:27], v[34:35]
	v_add_f64_e32 v[14:15], v[14:15], v[42:43]
	v_mul_f64_e32 v[34:35], s[46:47], v[106:107]
	v_fma_f64 v[197:198], v[102:103], s[16:17], v[110:111]
	v_fma_f64 v[110:111], v[102:103], s[16:17], -v[110:111]
	v_fma_f64 v[205:206], v[102:103], s[26:27], v[114:115]
	v_fma_f64 v[102:103], v[102:103], s[26:27], -v[114:115]
	v_mul_f64_e32 v[42:43], s[24:25], v[106:107]
	v_add_f64_e32 v[54:55], v[112:113], v[116:117]
	v_add_f64_e32 v[46:47], v[46:47], v[65:66]
	;; [unrolled: 1-line block ×4, first 2 shown]
	v_mul_f64_e32 v[106:107], s[36:37], v[106:107]
	v_add_f64_e32 v[112:113], v[147:148], v[132:133]
	v_add_f64_e32 v[116:117], v[187:188], v[161:162]
	;; [unrolled: 1-line block ×7, first 2 shown]
	v_mul_f64_e32 v[147:148], s[52:53], v[100:101]
	v_fma_f64 v[62:63], v[56:57], s[22:23], v[120:121]
	v_fma_f64 v[120:121], v[56:57], s[22:23], -v[120:121]
	v_fma_f64 v[155:156], v[56:57], s[26:27], v[171:172]
	v_add_f64_e32 v[50:51], v[58:59], v[50:51]
	v_mul_f64_e32 v[145:146], s[20:21], v[100:101]
	v_fma_f64 v[159:160], v[56:57], s[26:27], -v[171:172]
	v_fma_f64 v[165:166], v[56:57], s[12:13], v[191:192]
	v_fma_f64 v[167:168], v[56:57], s[12:13], -v[191:192]
	v_fma_f64 v[171:172], v[56:57], s[14:15], v[193:194]
	v_fma_f64 v[122:123], v[44:45], s[2:3], v[169:170]
	v_add_f64_e32 v[26:27], v[38:39], v[26:27]
	v_add_f64_e32 v[14:15], v[179:180], v[14:15]
	v_mul_f64_e32 v[38:39], s[38:39], v[100:101]
	v_fma_f64 v[161:162], v[56:57], s[2:3], v[34:35]
	v_mul_f64_e32 v[100:101], s[44:45], v[100:101]
	v_fma_f64 v[34:35], v[56:57], s[2:3], -v[34:35]
	v_fma_f64 v[179:180], v[56:57], s[14:15], -v[193:194]
	v_fma_f64 v[163:164], v[56:57], s[16:17], v[42:43]
	v_add_f64_e32 v[54:55], v[104:105], v[54:55]
	v_add_f64_e32 v[46:47], v[151:152], v[46:47]
	;; [unrolled: 1-line block ×4, first 2 shown]
	v_fma_f64 v[42:43], v[56:57], s[16:17], -v[42:43]
	v_fma_f64 v[181:182], v[56:57], s[0:1], v[106:107]
	v_fma_f64 v[56:57], v[56:57], s[0:1], -v[106:107]
	v_add_f64_e32 v[65:66], v[175:176], v[112:113]
	v_add_f64_e32 v[106:107], v[205:206], v[116:117]
	;; [unrolled: 1-line block ×9, first 2 shown]
	v_mul_f64_e32 v[132:133], s[34:35], v[52:53]
	v_mul_f64_e32 v[135:136], s[38:39], v[52:53]
	;; [unrolled: 1-line block ×5, first 2 shown]
	v_fma_f64 v[173:174], v[44:45], s[16:17], v[147:148]
	v_fma_f64 v[147:148], v[44:45], s[16:17], -v[147:148]
	v_add_f64_e32 v[50:51], v[60:61], v[50:51]
	v_fma_f64 v[151:152], v[44:45], s[2:3], -v[169:170]
	v_fma_f64 v[169:170], v[44:45], s[14:15], v[145:146]
	v_fma_f64 v[145:146], v[44:45], s[14:15], -v[145:146]
	v_fma_f64 v[175:176], v[44:45], s[0:1], v[149:150]
	;; [unrolled: 2-line block ×3, first 2 shown]
	v_add_f64_e32 v[26:27], v[30:31], v[26:27]
	v_add_f64_e32 v[14:15], v[199:200], v[14:15]
	v_mul_f64_e32 v[30:31], s[24:25], v[52:53]
	v_mul_f64_e32 v[52:53], s[28:29], v[52:53]
	v_fma_f64 v[157:158], v[44:45], s[22:23], v[38:39]
	v_fma_f64 v[38:39], v[44:45], s[22:23], -v[38:39]
	v_fma_f64 v[153:154], v[44:45], s[6:7], -v[153:154]
	v_fma_f64 v[183:184], v[44:45], s[26:27], v[100:101]
	v_add_f64_e32 v[54:55], v[62:63], v[54:55]
	v_add_f64_e32 v[46:47], v[120:121], v[46:47]
	;; [unrolled: 1-line block ×4, first 2 shown]
	v_fma_f64 v[44:45], v[44:45], s[26:27], -v[100:101]
	v_add_f64_e32 v[60:61], v[159:160], v[65:66]
	v_add_f64_e32 v[65:66], v[163:164], v[106:107]
	;; [unrolled: 1-line block ×9, first 2 shown]
	v_mul_f64_e32 v[108:109], s[38:39], v[40:41]
	v_mul_f64_e32 v[110:111], s[18:19], v[40:41]
	;; [unrolled: 1-line block ×5, first 2 shown]
	v_fma_f64 v[118:119], v[28:29], s[0:1], v[132:133]
	v_fma_f64 v[120:121], v[28:29], s[0:1], -v[132:133]
	v_fma_f64 v[132:133], v[28:29], s[22:23], v[135:136]
	v_fma_f64 v[135:136], v[28:29], s[22:23], -v[135:136]
	;; [unrolled: 2-line block ×4, first 2 shown]
	v_fma_f64 v[161:162], v[28:29], s[6:7], v[143:144]
	v_add_f64_e32 v[22:23], v[22:23], v[26:27]
	v_add_f64_e32 v[14:15], v[165:166], v[14:15]
	v_mul_f64_e32 v[26:27], s[30:31], v[40:41]
	v_mul_f64_e32 v[40:41], s[36:37], v[40:41]
	v_fma_f64 v[36:37], v[28:29], s[16:17], v[30:31]
	v_fma_f64 v[30:31], v[28:29], s[16:17], -v[30:31]
	v_fma_f64 v[143:144], v[28:29], s[6:7], -v[143:144]
	v_fma_f64 v[163:164], v[28:29], s[2:3], v[52:53]
	v_fma_f64 v[28:29], v[28:29], s[2:3], -v[52:53]
	v_add_f64_e32 v[48:49], v[48:49], v[50:51]
	v_add_f64_e32 v[50:51], v[173:174], v[54:55]
	v_add_f64_e32 v[46:47], v[147:148], v[46:47]
	v_add_f64_e32 v[52:53], v[122:123], v[58:59]
	v_add_f64_e32 v[58:59], v[157:158], v[62:63]
	v_mul_f64_e32 v[122:123], s[28:29], v[16:17]
	v_add_f64_e32 v[54:55], v[151:152], v[60:61]
	v_add_f64_e32 v[60:61], v[177:178], v[65:66]
	v_add_f64_e32 v[62:63], v[183:184], v[100:101]
	v_add_f64_e32 v[42:43], v[153:154], v[42:43]
	v_add_f64_e32 v[65:66], v[169:170], v[102:103]
	v_add_f64_e32 v[56:57], v[145:146], v[56:57]
	v_add_f64_e32 v[44:45], v[44:45], v[104:105]
	v_add_f64_e32 v[34:35], v[38:39], v[34:35]
	v_add_f64_e32 v[38:39], v[149:150], v[106:107]
	v_mul_f64_e32 v[100:101], s[24:25], v[16:17]
	v_mul_f64_e32 v[102:103], s[20:21], v[16:17]
	;; [unrolled: 1-line block ×4, first 2 shown]
	v_fma_f64 v[145:146], v[8:9], s[22:23], v[108:109]
	v_fma_f64 v[108:109], v[8:9], s[22:23], -v[108:109]
	v_fma_f64 v[147:148], v[8:9], s[12:13], v[110:111]
	v_fma_f64 v[110:111], v[8:9], s[12:13], -v[110:111]
	;; [unrolled: 2-line block ×5, first 2 shown]
	v_add_f64_e32 v[18:19], v[18:19], v[22:23]
	v_add_f64_e32 v[14:15], v[175:176], v[14:15]
	v_mul_f64_e32 v[22:23], s[40:41], v[16:17]
	v_mul_f64_e32 v[16:17], s[42:43], v[16:17]
	v_fma_f64 v[24:25], v[8:9], s[6:7], v[26:27]
	v_fma_f64 v[26:27], v[8:9], s[6:7], -v[26:27]
	v_fma_f64 v[157:158], v[8:9], s[0:1], v[40:41]
	v_fma_f64 v[8:9], v[8:9], s[0:1], -v[40:41]
	v_add_f64_e32 v[32:33], v[32:33], v[48:49]
	v_add_f64_e32 v[40:41], v[155:156], v[50:51]
	;; [unrolled: 1-line block ×14, first 2 shown]
	v_fma_f64 v[56:57], v[0:1], s[16:17], -v[100:101]
	v_fma_f64 v[58:59], v[0:1], s[14:15], v[102:103]
	v_fma_f64 v[60:61], v[0:1], s[14:15], -v[102:103]
	v_fma_f64 v[62:63], v[0:1], s[12:13], v[104:105]
	v_fma_f64 v[65:66], v[0:1], s[12:13], -v[104:105]
	v_fma_f64 v[102:103], v[0:1], s[0:1], -v[106:107]
	v_fma_f64 v[104:105], v[0:1], s[2:3], v[122:123]
	v_add_f64_e32 v[10:11], v[10:11], v[18:19]
	v_add_f64_e32 v[14:15], v[159:160], v[14:15]
	v_fma_f64 v[18:19], v[0:1], s[26:27], v[22:23]
	v_fma_f64 v[20:21], v[0:1], s[26:27], -v[22:23]
	v_fma_f64 v[22:23], v[0:1], s[16:17], v[100:101]
	v_fma_f64 v[100:101], v[0:1], s[0:1], v[106:107]
	v_fma_f64 v[106:107], v[0:1], s[2:3], -v[122:123]
	v_fma_f64 v[118:119], v[0:1], s[6:7], v[16:17]
	v_fma_f64 v[0:1], v[0:1], s[6:7], -v[16:17]
	v_add_f64_e32 v[12:13], v[12:13], v[32:33]
	v_add_f64_e32 v[16:17], v[149:150], v[40:41]
	;; [unrolled: 1-line block ×32, first 2 shown]
	v_lshl_add_u32 v10, v124, 7, v134
	ds_store_2addr_b64 v10, v[16:17], v[20:21] offset0:4 offset1:5
	ds_store_2addr_b64 v10, v[24:25], v[32:33] offset0:6 offset1:7
	;; [unrolled: 1-line block ×6, first 2 shown]
	ds_store_2addr_b64 v10, v[2:3], v[4:5] offset1:1
	ds_store_2addr_b64 v10, v[12:13], v[6:7] offset0:2 offset1:3
	ds_store_b64 v10, v[130:131] offset:128
.LBB0_15:
	s_or_b32 exec_lo, exec_lo, s33
	v_add_nc_u32_e32 v138, 51, v124
	v_add_nc_u32_e32 v137, 0x66, v124
	v_and_b32_e32 v0, 0xff, v124
	v_add_nc_u32_e32 v136, 0x99, v124
	v_add_nc_u32_e32 v135, 0xcc, v124
	v_and_b32_e32 v1, 0xff, v138
	v_and_b32_e32 v2, 0xff, v137
	v_add_nc_u32_e32 v139, 0xff, v124
	v_add_nc_u32_e32 v140, 0x132, v124
	v_mul_lo_u16 v0, 0xf1, v0
	v_mul_lo_u16 v149, 0xf1, v1
	v_add_nc_u32_e32 v141, 0x165, v124
	v_mul_lo_u16 v148, 0xf1, v2
	v_and_b32_e32 v2, 0xff, v136
	v_and_b32_e32 v144, 0xff, v135
	;; [unrolled: 1-line block ×3, first 2 shown]
	v_lshrrev_b16 v28, 12, v0
	v_and_b32_e32 v146, 0xffff, v140
	v_lshrrev_b16 v29, 12, v149
	v_and_b32_e32 v145, 0xffff, v141
	v_mul_lo_u16 v151, 0xf1, v2
	v_mul_lo_u16 v150, 0xf1, v144
	v_mul_u32_u24_e32 v147, 0xf0f1, v143
	v_mul_lo_u16 v0, v28, 17
	v_mul_u32_u24_e32 v9, 0xf0f1, v146
	v_lshrrev_b16 v153, 12, v148
	v_mul_lo_u16 v1, v29, 17
	v_mul_u32_u24_e32 v10, 0xf0f1, v145
	v_lshrrev_b16 v157, 12, v151
	v_lshrrev_b16 v158, 12, v150
	v_lshrrev_b32_e32 v159, 20, v147
	v_sub_nc_u16 v0, v124, v0
	v_lshrrev_b32_e32 v160, 20, v9
	v_mul_lo_u16 v3, v153, 17
	v_sub_nc_u16 v1, v138, v1
	v_lshrrev_b32_e32 v161, 20, v10
	v_mul_lo_u16 v9, v157, 17
	v_mul_lo_u16 v10, v158, 17
	;; [unrolled: 1-line block ×3, first 2 shown]
	v_and_b32_e32 v154, 0xff, v0
	v_mul_lo_u16 v12, v160, 17
	v_sub_nc_u16 v3, v137, v3
	v_and_b32_e32 v155, 0xff, v1
	v_mul_lo_u16 v13, v161, 17
	v_sub_nc_u16 v9, v136, v9
	v_sub_nc_u16 v10, v135, v10
	;; [unrolled: 1-line block ×3, first 2 shown]
	v_lshlrev_b32_e32 v0, 4, v154
	v_sub_nc_u16 v12, v140, v12
	v_and_b32_e32 v156, 0xff, v3
	v_lshlrev_b32_e32 v4, 4, v155
	v_sub_nc_u16 v13, v141, v13
	v_and_b32_e32 v162, 0xff, v9
	v_and_b32_e32 v163, 0xff, v10
	;; [unrolled: 1-line block ×3, first 2 shown]
	global_wb scope:SCOPE_SE
	s_wait_dscnt 0x0
	s_barrier_signal -1
	s_barrier_wait -1
	global_inv scope:SCOPE_SE
	s_clause 0x1
	global_load_b128 v[0:3], v0, s[4:5]
	global_load_b128 v[4:7], v4, s[4:5]
	v_and_b32_e32 v165, 0xffff, v12
	v_lshlrev_b32_e32 v8, 4, v156
	v_and_b32_e32 v166, 0xffff, v13
	v_lshlrev_b32_e32 v12, 4, v162
	v_lshlrev_b32_e32 v13, 4, v163
	;; [unrolled: 1-line block ×5, first 2 shown]
	s_clause 0x5
	global_load_b128 v[8:11], v8, s[4:5]
	global_load_b128 v[40:43], v12, s[4:5]
	;; [unrolled: 1-line block ×6, first 2 shown]
	ds_load_2addr_b64 v[104:107], v125 offset0:152 offset1:203
	ds_load_2addr_b64 v[100:103], v64 offset0:126 offset1:177
	ds_load_2addr_b64 v[64:67], v142 offset0:100 offset1:151
	ds_load_2addr_b64 v[60:63], v142 offset0:202 offset1:253
	v_and_b32_e32 v168, 0xffff, v29
	v_add_nc_u32_e32 v152, 0x400, v134
	ds_load_2addr_b64 v[108:111], v134 offset1:51
	ds_load_2addr_b64 v[120:123], v134 offset0:102 offset1:153
	ds_load_2addr_b64 v[116:119], v134 offset0:204 offset1:255
	;; [unrolled: 1-line block ×3, first 2 shown]
	global_wb scope:SCOPE_SE
	s_wait_loadcnt_dscnt 0x0
	s_barrier_signal -1
	s_barrier_wait -1
	global_inv scope:SCOPE_SE
	v_cmp_gt_u32_e64 s0, 17, v124
	v_mul_f64_e32 v[12:13], v[104:105], v[2:3]
	v_mul_f64_e32 v[14:15], v[106:107], v[6:7]
	;; [unrolled: 1-line block ×8, first 2 shown]
	v_fma_f64 v[12:13], v[80:81], v[0:1], -v[12:13]
	v_fma_f64 v[14:15], v[82:83], v[4:5], -v[14:15]
	;; [unrolled: 1-line block ×8, first 2 shown]
	v_add_f64_e64 v[12:13], v[84:85], -v[12:13]
	v_add_f64_e64 v[14:15], v[86:87], -v[14:15]
	;; [unrolled: 1-line block ×8, first 2 shown]
	v_and_b32_e32 v26, 0xffff, v28
	s_delay_alu instid0(VALU_DEP_1)
	v_mul_u32_u24_e32 v167, 0x110, v26
	v_fma_f64 v[26:27], v[84:85], 2.0, -v[12:13]
	v_fma_f64 v[28:29], v[86:87], 2.0, -v[14:15]
	v_and_b32_e32 v86, 0xffff, v153
	v_and_b32_e32 v87, 0xffff, v157
	v_lshlrev_b32_e32 v153, 3, v166
	v_fma_f64 v[30:31], v[88:89], 2.0, -v[16:17]
	v_fma_f64 v[32:33], v[90:91], 2.0, -v[18:19]
	;; [unrolled: 1-line block ×6, first 2 shown]
	v_and_b32_e32 v88, 0xffff, v158
	v_lshlrev_b32_e32 v89, 3, v154
	v_mul_u32_u24_e32 v90, 0x110, v168
	v_mul_u32_u24_e32 v86, 0x110, v86
	v_lshlrev_b32_e32 v91, 3, v156
	v_mul_u32_u24_e32 v92, 0x110, v88
	v_add3_u32 v88, 0, v167, v89
	v_lshlrev_b32_e32 v89, 3, v155
	v_mul_u32_u24_e32 v87, 0x110, v87
	v_lshlrev_b32_e32 v96, 3, v162
	v_lshlrev_b32_e32 v97, 3, v163
	v_mul_u32_u24_e32 v93, 0x110, v159
	v_mul_u32_u24_e32 v94, 0x110, v160
	;; [unrolled: 1-line block ×3, first 2 shown]
	v_lshlrev_b32_e32 v98, 3, v164
	v_lshlrev_b32_e32 v99, 3, v165
	v_add3_u32 v89, 0, v90, v89
	v_add3_u32 v90, 0, v86, v91
	;; [unrolled: 1-line block ×7, first 2 shown]
	ds_store_2addr_b64 v88, v[26:27], v[12:13] offset1:17
	ds_store_2addr_b64 v89, v[28:29], v[14:15] offset1:17
	;; [unrolled: 1-line block ×8, first 2 shown]
	global_wb scope:SCOPE_SE
	s_wait_dscnt 0x0
	s_barrier_signal -1
	s_barrier_wait -1
	global_inv scope:SCOPE_SE
	ds_load_2addr_b64 v[16:19], v134 offset1:51
	ds_load_2addr_b64 v[12:15], v152 offset0:76 offset1:144
	ds_load_2addr_b64 v[36:39], v142 offset0:32 offset1:83
	;; [unrolled: 1-line block ×6, first 2 shown]
	ds_load_b64 v[86:87], v134 offset:5984
                                        ; implicit-def: $vgpr84_vgpr85
	s_and_saveexec_b32 s1, s0
	s_cbranch_execz .LBB0_17
; %bb.16:
	ds_load_b64 v[132:133], v134 offset:2040
	ds_load_b64 v[128:129], v134 offset:4216
	;; [unrolled: 1-line block ×3, first 2 shown]
.LBB0_17:
	s_wait_alu 0xfffe
	s_or_b32 exec_lo, exec_lo, s1
	v_mul_f64_e32 v[2:3], v[80:81], v[2:3]
	v_mul_f64_e32 v[6:7], v[82:83], v[6:7]
	;; [unrolled: 1-line block ×8, first 2 shown]
	global_wb scope:SCOPE_SE
	s_wait_dscnt 0x0
	s_barrier_signal -1
	s_barrier_wait -1
	global_inv scope:SCOPE_SE
	v_fma_f64 v[0:1], v[104:105], v[0:1], v[2:3]
	v_fma_f64 v[2:3], v[106:107], v[4:5], v[6:7]
	;; [unrolled: 1-line block ×8, first 2 shown]
	v_add_nc_u32_e32 v60, 0x1000, v134
	v_add_nc_u32_e32 v61, 0x800, v134
	v_add_f64_e64 v[0:1], v[108:109], -v[0:1]
	v_add_f64_e64 v[2:3], v[110:111], -v[2:3]
	;; [unrolled: 1-line block ×8, first 2 shown]
	v_fma_f64 v[42:43], v[108:109], 2.0, -v[0:1]
	v_fma_f64 v[44:45], v[110:111], 2.0, -v[2:3]
	;; [unrolled: 1-line block ×8, first 2 shown]
	ds_store_2addr_b64 v88, v[42:43], v[0:1] offset1:17
	ds_store_2addr_b64 v89, v[44:45], v[2:3] offset1:17
	;; [unrolled: 1-line block ×8, first 2 shown]
	global_wb scope:SCOPE_SE
	s_wait_dscnt 0x0
	s_barrier_signal -1
	s_barrier_wait -1
	global_inv scope:SCOPE_SE
	ds_load_2addr_b64 v[4:7], v134 offset1:51
	ds_load_2addr_b64 v[0:3], v152 offset0:76 offset1:144
	ds_load_2addr_b64 v[48:51], v60 offset0:32 offset1:83
	;; [unrolled: 1-line block ×6, first 2 shown]
	ds_load_b64 v[60:61], v134 offset:5984
                                        ; implicit-def: $vgpr58_vgpr59
	s_and_saveexec_b32 s1, s0
	s_cbranch_execz .LBB0_19
; %bb.18:
	ds_load_b64 v[56:57], v134 offset:2040
	ds_load_b64 v[130:131], v134 offset:4216
	;; [unrolled: 1-line block ×3, first 2 shown]
.LBB0_19:
	s_wait_alu 0xfffe
	s_or_b32 exec_lo, exec_lo, s1
	v_subrev_nc_u32_e32 v62, 34, v124
	v_cmp_gt_u32_e64 s1, 34, v124
	v_lshrrev_b16 v125, 13, v149
	v_lshrrev_b16 v159, 13, v148
	;; [unrolled: 1-line block ×4, first 2 shown]
	s_wait_alu 0xf1ff
	v_cndmask_b32_e64 v142, v62, v124, s1
	v_mov_b32_e32 v63, 0
	v_mul_lo_u16 v64, v125, 34
	v_mul_lo_u16 v65, v159, 34
	;; [unrolled: 1-line block ×3, first 2 shown]
	v_lshlrev_b32_e32 v62, 1, v142
	v_mul_lo_u16 v67, v161, 34
	v_sub_nc_u16 v64, v138, v64
	v_sub_nc_u16 v65, v137, v65
	;; [unrolled: 1-line block ×3, first 2 shown]
	v_lshlrev_b64_e32 v[62:63], 4, v[62:63]
	s_mov_b32 s2, 0xe8584caa
	v_and_b32_e32 v162, 0xff, v64
	v_sub_nc_u16 v64, v135, v67
	v_and_b32_e32 v163, 0xff, v65
	v_and_b32_e32 v164, 0xff, v66
	v_add_co_u32 v62, s1, s4, v62
	s_wait_alu 0xf1ff
	v_add_co_ci_u32_e64 v63, s1, s5, v63, s1
	v_and_b32_e32 v165, 0xff, v64
	v_lshlrev_b32_e32 v65, 5, v162
	s_clause 0x1
	global_load_b128 v[68:71], v[62:63], off offset:288
	global_load_b128 v[72:75], v[62:63], off offset:272
	v_lshlrev_b32_e32 v62, 5, v163
	v_lshlrev_b32_e32 v63, 5, v164
	;; [unrolled: 1-line block ×3, first 2 shown]
	s_clause 0x7
	global_load_b128 v[76:79], v65, s[4:5] offset:288
	global_load_b128 v[80:83], v65, s[4:5] offset:272
	;; [unrolled: 1-line block ×8, first 2 shown]
	v_lshrrev_b32_e32 v62, 21, v147
	s_mov_b32 s3, 0x3febb67a
	s_mov_b32 s7, 0xbfebb67a
	s_wait_alu 0xfffe
	s_mov_b32 s6, s2
	v_cmp_lt_u32_e64 s1, 33, v124
	v_mul_lo_u16 v62, v62, 34
	s_delay_alu instid0(VALU_DEP_1) | instskip(NEXT) | instid1(VALU_DEP_1)
	v_sub_nc_u16 v62, v139, v62
	v_and_b32_e32 v166, 0xffff, v62
	s_delay_alu instid0(VALU_DEP_1)
	v_lshlrev_b32_e32 v62, 5, v166
	s_clause 0x1
	global_load_b128 v[112:115], v62, s[4:5] offset:272
	global_load_b128 v[116:119], v62, s[4:5] offset:288
	global_wb scope:SCOPE_SE
	s_wait_loadcnt_dscnt 0x0
	s_barrier_signal -1
	s_barrier_wait -1
	global_inv scope:SCOPE_SE
	v_mul_f64_e32 v[66:67], v[48:49], v[70:71]
	v_mul_f64_e32 v[62:63], v[2:3], v[74:75]
	;; [unrolled: 1-line block ×20, first 2 shown]
	v_fma_f64 v[66:67], v[36:37], v[68:69], -v[66:67]
	v_fma_f64 v[64:65], v[14:15], v[72:73], -v[62:63]
	;; [unrolled: 1-line block ×10, first 2 shown]
	v_fma_f64 v[26:27], v[44:45], v[92:93], v[94:95]
	v_fma_f64 v[14:15], v[50:51], v[76:77], v[78:79]
	v_mul_f64_e32 v[76:77], v[128:129], v[114:115]
	v_fma_f64 v[44:45], v[2:3], v[72:73], v[74:75]
	v_fma_f64 v[2:3], v[48:49], v[68:69], v[70:71]
	;; [unrolled: 1-line block ×8, first 2 shown]
	v_mul_f64_e32 v[74:75], v[130:131], v[114:115]
	v_mul_f64_e32 v[78:79], v[58:59], v[118:119]
	v_lshlrev_b32_e32 v100, 3, v165
	v_add_f64_e32 v[70:71], v[64:65], v[66:67]
	v_add_f64_e32 v[90:91], v[16:17], v[64:65]
	;; [unrolled: 1-line block ×10, first 2 shown]
	v_add_f64_e64 v[92:93], v[44:45], -v[2:3]
	v_add_f64_e64 v[94:95], v[50:51], -v[26:27]
	;; [unrolled: 1-line block ×4, first 2 shown]
	v_fma_f64 v[16:17], v[70:71], -0.5, v[16:17]
	v_add_f64_e64 v[70:71], v[52:53], -v[14:15]
	v_fma_f64 v[20:21], v[46:47], -0.5, v[20:21]
	v_fma_f64 v[46:47], v[84:85], v[116:117], -v[78:79]
	v_fma_f64 v[22:23], v[42:43], -0.5, v[22:23]
	v_fma_f64 v[42:43], v[128:129], v[112:113], -v[74:75]
	v_fma_f64 v[12:13], v[72:73], -0.5, v[12:13]
	v_mul_f64_e32 v[72:73], v[84:85], v[118:119]
	v_fma_f64 v[18:19], v[40:41], -0.5, v[18:19]
	v_fma_f64 v[40:41], v[130:131], v[112:113], v[76:77]
	v_add_f64_e32 v[76:77], v[80:81], v[36:37]
	v_add_f64_e32 v[80:81], v[86:87], v[62:63]
	;; [unrolled: 1-line block ×5, first 2 shown]
	v_and_b32_e32 v74, 0xffff, v161
	v_lshlrev_b32_e32 v75, 3, v142
	v_fma_f64 v[86:87], v[92:93], s[2:3], v[16:17]
	s_wait_alu 0xfffe
	v_fma_f64 v[16:17], v[92:93], s[6:7], v[16:17]
	v_fma_f64 v[90:91], v[94:95], s[2:3], v[20:21]
	;; [unrolled: 1-line block ×10, first 2 shown]
	v_and_b32_e32 v71, 0xffff, v125
	v_and_b32_e32 v72, 0xffff, v159
	;; [unrolled: 1-line block ×3, first 2 shown]
	s_wait_alu 0xf1ff
	v_cndmask_b32_e64 v70, 0, 0x330, s1
	v_mul_u32_u24_e32 v97, 0x330, v74
	v_mul_u32_u24_e32 v96, 0x330, v71
	;; [unrolled: 1-line block ×4, first 2 shown]
	v_lshlrev_b32_e32 v74, 3, v162
	v_lshlrev_b32_e32 v98, 3, v163
	;; [unrolled: 1-line block ×3, first 2 shown]
	v_add3_u32 v71, 0, v70, v75
	v_lshl_add_u32 v70, v166, 3, 0
	v_add3_u32 v75, 0, v96, v74
	v_add3_u32 v74, 0, v72, v98
	;; [unrolled: 1-line block ×4, first 2 shown]
	ds_store_2addr_b64 v71, v[84:85], v[86:87] offset1:34
	ds_store_b64 v71, v[16:17] offset:544
	ds_store_2addr_b64 v75, v[76:77], v[88:89] offset1:34
	ds_store_b64 v75, v[18:19] offset:544
	;; [unrolled: 2-line block ×5, first 2 shown]
	s_and_saveexec_b32 s1, s0
	s_cbranch_execz .LBB0_21
; %bb.20:
	v_add_f64_e32 v[12:13], v[42:43], v[46:47]
	v_add_f64_e64 v[16:17], v[40:41], -v[58:59]
	v_add_f64_e32 v[18:19], v[132:133], v[42:43]
	s_delay_alu instid0(VALU_DEP_3) | instskip(NEXT) | instid1(VALU_DEP_2)
	v_fma_f64 v[12:13], v[12:13], -0.5, v[132:133]
	v_add_f64_e32 v[18:19], v[18:19], v[46:47]
	s_delay_alu instid0(VALU_DEP_2)
	v_fma_f64 v[20:21], v[16:17], s[2:3], v[12:13]
	v_fma_f64 v[12:13], v[16:17], s[6:7], v[12:13]
	v_add_nc_u32_e32 v16, 0x1000, v70
	ds_store_2addr_b64 v16, v[18:19], v[20:21] offset0:202 offset1:236
	ds_store_b64 v70, v[12:13] offset:6256
.LBB0_21:
	s_wait_alu 0xfffe
	s_or_b32 exec_lo, exec_lo, s1
	v_add_f64_e32 v[12:13], v[44:45], v[2:3]
	v_add_f64_e32 v[16:17], v[52:53], v[14:15]
	;; [unrolled: 1-line block ×6, first 2 shown]
	v_add_f64_e64 v[64:65], v[64:65], -v[66:67]
	v_add_f64_e32 v[52:53], v[6:7], v[52:53]
	v_add_f64_e32 v[48:49], v[10:11], v[48:49]
	v_add_f64_e32 v[50:51], v[8:9], v[50:51]
	v_add_f64_e32 v[66:67], v[0:1], v[68:69]
	global_wb scope:SCOPE_SE
	s_wait_dscnt 0x0
	s_barrier_signal -1
	s_barrier_wait -1
	global_inv scope:SCOPE_SE
	v_fma_f64 v[4:5], v[12:13], -0.5, v[4:5]
	v_add_f64_e64 v[12:13], v[32:33], -v[36:37]
	v_fma_f64 v[6:7], v[16:17], -0.5, v[6:7]
	v_add_f64_e64 v[16:17], v[34:35], -v[38:39]
	;; [unrolled: 2-line block ×4, first 2 shown]
	v_fma_f64 v[0:1], v[22:23], -0.5, v[0:1]
	v_add_f64_e32 v[35:36], v[44:45], v[2:3]
	v_add_f64_e32 v[37:38], v[52:53], v[14:15]
	;; [unrolled: 1-line block ×5, first 2 shown]
	v_add_nc_u32_e32 v32, 0x800, v134
	v_add_nc_u32_e32 v33, 0xc00, v134
	v_add_nc_u32_e32 v34, 0x1000, v134
	v_fma_f64 v[52:53], v[64:65], s[6:7], v[4:5]
	v_fma_f64 v[54:55], v[64:65], s[2:3], v[4:5]
	;; [unrolled: 1-line block ×10, first 2 shown]
	ds_load_2addr_b64 v[0:3], v134 offset1:51
	ds_load_2addr_b64 v[8:11], v134 offset0:102 offset1:153
	ds_load_2addr_b64 v[4:7], v134 offset0:204 offset1:255
	;; [unrolled: 1-line block ×7, first 2 shown]
	global_wb scope:SCOPE_SE
	s_wait_dscnt 0x0
	s_barrier_signal -1
	s_barrier_wait -1
	global_inv scope:SCOPE_SE
	ds_store_2addr_b64 v71, v[35:36], v[52:53] offset1:34
	ds_store_b64 v71, v[54:55] offset:544
	ds_store_2addr_b64 v75, v[37:38], v[60:61] offset1:34
	ds_store_b64 v75, v[62:63] offset:544
	;; [unrolled: 2-line block ×5, first 2 shown]
	s_and_saveexec_b32 s1, s0
	s_cbranch_execz .LBB0_23
; %bb.22:
	v_add_f64_e32 v[35:36], v[40:41], v[58:59]
	v_add_f64_e64 v[37:38], v[42:43], -v[46:47]
	v_add_f64_e32 v[39:40], v[56:57], v[40:41]
	s_mov_b32 s3, 0xbfebb67a
	s_mov_b32 s2, 0xe8584caa
	s_delay_alu instid0(VALU_DEP_3) | instskip(NEXT) | instid1(VALU_DEP_2)
	v_fma_f64 v[35:36], v[35:36], -0.5, v[56:57]
	v_add_f64_e32 v[39:40], v[39:40], v[58:59]
	s_wait_alu 0xfffe
	s_delay_alu instid0(VALU_DEP_2)
	v_fma_f64 v[41:42], v[37:38], s[2:3], v[35:36]
	s_mov_b32 s3, 0x3febb67a
	s_wait_alu 0xfffe
	v_fma_f64 v[35:36], v[37:38], s[2:3], v[35:36]
	v_add_nc_u32_e32 v37, 0x1000, v70
	ds_store_2addr_b64 v37, v[39:40], v[41:42] offset0:202 offset1:236
	ds_store_b64 v70, v[35:36] offset:6256
.LBB0_23:
	s_wait_alu 0xfffe
	s_or_b32 exec_lo, exec_lo, s1
	v_mul_u32_u24_e32 v36, 0xa0a1, v143
	v_mul_lo_u16 v35, 0xa1, v144
	v_mul_u32_u24_e32 v37, 0xa0a1, v146
	v_mul_u32_u24_e32 v38, 0xa0a1, v145
	global_wb scope:SCOPE_SE
	s_wait_dscnt 0x0
	v_lshrrev_b32_e32 v36, 22, v36
	v_lshrrev_b16 v35, 14, v35
	v_lshrrev_b32_e32 v37, 22, v37
	v_lshrrev_b32_e32 v38, 22, v38
	s_barrier_signal -1
	v_mul_lo_u16 v40, 0x66, v36
	v_mul_lo_u16 v39, 0x66, v35
	;; [unrolled: 1-line block ×4, first 2 shown]
	s_barrier_wait -1
	v_sub_nc_u16 v42, v139, v40
	v_mov_b32_e32 v125, 0
	v_sub_nc_u16 v37, v140, v37
	v_sub_nc_u16 v38, v141, v38
	global_inv scope:SCOPE_SE
	v_and_b32_e32 v98, 0xffff, v42
	v_lshlrev_b64_e32 v[35:36], 4, v[124:125]
	v_and_b32_e32 v99, 0xffff, v37
	v_and_b32_e32 v100, 0xffff, v38
	v_sub_nc_u16 v39, v135, v39
	v_lshlrev_b32_e32 v50, 4, v98
	v_add_co_u32 v40, s0, s4, v35
	s_wait_alu 0xf1ff
	v_add_co_ci_u32_e64 v41, s0, s5, v36, s0
	v_and_b32_e32 v39, 0xff, v39
	v_lshlrev_b32_e32 v54, 4, v99
	s_clause 0x1
	global_load_b128 v[35:38], v[40:41], off offset:1360
	global_load_b128 v[42:45], v[40:41], off offset:2176
	v_lshlrev_b32_e32 v58, 4, v100
	v_lshlrev_b32_e32 v46, 4, v39
	s_clause 0x3
	global_load_b128 v[46:49], v46, s[4:5] offset:1360
	global_load_b128 v[50:53], v50, s[4:5] offset:1360
	;; [unrolled: 1-line block ×4, first 2 shown]
	ds_load_2addr_b64 v[62:65], v32 offset0:152 offset1:203
	ds_load_2addr_b64 v[66:69], v33 offset0:126 offset1:177
	;; [unrolled: 1-line block ×4, first 2 shown]
	v_lshl_add_u32 v39, v39, 3, 0
	s_delay_alu instid0(VALU_DEP_1)
	v_add_nc_u32_e32 v39, 0x800, v39
	s_wait_loadcnt_dscnt 0x503
	v_mul_f64_e32 v[78:79], v[62:63], v[37:38]
	s_wait_loadcnt 0x4
	v_mul_f64_e32 v[80:81], v[64:65], v[44:45]
	s_wait_dscnt 0x2
	v_mul_f64_e32 v[82:83], v[66:67], v[37:38]
	v_mul_f64_e32 v[84:85], v[68:69], v[44:45]
	;; [unrolled: 1-line block ×6, first 2 shown]
	s_wait_loadcnt_dscnt 0x301
	v_mul_f64_e32 v[86:87], v[70:71], v[48:49]
	v_mul_f64_e32 v[48:49], v[16:17], v[48:49]
	s_wait_loadcnt 0x2
	v_mul_f64_e32 v[88:89], v[72:73], v[52:53]
	v_mul_f64_e32 v[52:53], v[18:19], v[52:53]
	s_wait_loadcnt_dscnt 0x100
	v_mul_f64_e32 v[90:91], v[74:75], v[56:57]
	v_mul_f64_e32 v[56:57], v[20:21], v[56:57]
	s_wait_loadcnt 0x0
	v_mul_f64_e32 v[92:93], v[76:77], v[60:61]
	v_mul_f64_e32 v[60:61], v[22:23], v[60:61]
	v_fma_f64 v[28:29], v[28:29], v[35:36], -v[78:79]
	v_fma_f64 v[30:31], v[30:31], v[42:43], -v[80:81]
	;; [unrolled: 1-line block ×4, first 2 shown]
	v_fma_f64 v[62:63], v[62:63], v[35:36], v[94:95]
	v_fma_f64 v[64:65], v[64:65], v[42:43], v[96:97]
	;; [unrolled: 1-line block ×4, first 2 shown]
	v_fma_f64 v[78:79], v[16:17], v[46:47], -v[86:87]
	v_fma_f64 v[42:43], v[70:71], v[46:47], v[48:49]
	v_fma_f64 v[80:81], v[18:19], v[50:51], -v[88:89]
	v_fma_f64 v[44:45], v[72:73], v[50:51], v[52:53]
	;; [unrolled: 2-line block ×4, first 2 shown]
	ds_load_2addr_b64 v[16:19], v134 offset1:51
	ds_load_2addr_b64 v[20:23], v134 offset0:102 offset1:153
	v_lshl_add_u32 v86, v98, 3, 0
	v_lshl_add_u32 v87, v99, 3, 0
	;; [unrolled: 1-line block ×3, first 2 shown]
	s_delay_alu instid0(VALU_DEP_3) | instskip(NEXT) | instid1(VALU_DEP_3)
	v_add_nc_u32_e32 v86, 0x800, v86
	v_add_nc_u32_e32 v87, 0x1000, v87
	s_delay_alu instid0(VALU_DEP_3)
	v_add_nc_u32_e32 v88, 0x1000, v88
	v_add_f64_e64 v[50:51], v[0:1], -v[28:29]
	v_add_f64_e64 v[52:53], v[2:3], -v[30:31]
	;; [unrolled: 1-line block ×4, first 2 shown]
	ds_load_2addr_b64 v[24:27], v134 offset0:204 offset1:255
	ds_load_2addr_b64 v[28:31], v32 offset0:50 offset1:101
	s_wait_dscnt 0x3
	v_add_f64_e64 v[62:63], v[16:17], -v[62:63]
	v_add_f64_e64 v[64:65], v[18:19], -v[64:65]
	s_wait_dscnt 0x2
	v_add_f64_e64 v[35:36], v[20:21], -v[35:36]
	v_add_f64_e64 v[37:38], v[22:23], -v[37:38]
	;; [unrolled: 1-line block ×4, first 2 shown]
	global_wb scope:SCOPE_SE
	s_wait_dscnt 0x0
	v_add_f64_e64 v[66:67], v[12:13], -v[82:83]
	s_barrier_signal -1
	v_add_f64_e64 v[68:69], v[14:15], -v[84:85]
	s_barrier_wait -1
	global_inv scope:SCOPE_SE
	v_add_f64_e64 v[42:43], v[24:25], -v[42:43]
	v_add_f64_e64 v[44:45], v[26:27], -v[44:45]
	;; [unrolled: 1-line block ×4, first 2 shown]
	v_fma_f64 v[0:1], v[0:1], 2.0, -v[50:51]
	v_fma_f64 v[2:3], v[2:3], 2.0, -v[52:53]
	;; [unrolled: 1-line block ×12, first 2 shown]
	ds_store_2addr_b64 v134, v[50:51], v[52:53] offset0:102 offset1:153
	ds_store_2addr_b64 v32, v[54:55], v[56:57] offset0:50 offset1:101
	ds_store_2addr_b64 v134, v[0:1], v[2:3] offset1:51
	ds_store_2addr_b64 v134, v[8:9], v[10:11] offset0:204 offset1:255
	ds_store_2addr_b64 v39, v[4:5], v[58:59] offset0:152 offset1:254
	;; [unrolled: 1-line block ×5, first 2 shown]
	v_fma_f64 v[78:79], v[24:25], 2.0, -v[42:43]
	v_fma_f64 v[80:81], v[26:27], 2.0, -v[44:45]
	;; [unrolled: 1-line block ×4, first 2 shown]
	global_wb scope:SCOPE_SE
	s_wait_dscnt 0x0
	s_barrier_signal -1
	s_barrier_wait -1
	global_inv scope:SCOPE_SE
	ds_load_2addr_b64 v[0:3], v134 offset1:51
	ds_load_2addr_b64 v[4:7], v32 offset0:152 offset1:203
	ds_load_2addr_b64 v[8:11], v134 offset0:102 offset1:153
	;; [unrolled: 1-line block ×7, first 2 shown]
	global_wb scope:SCOPE_SE
	s_wait_dscnt 0x0
	s_barrier_signal -1
	s_barrier_wait -1
	global_inv scope:SCOPE_SE
	ds_store_2addr_b64 v134, v[70:71], v[72:73] offset1:51
	ds_store_2addr_b64 v134, v[62:63], v[64:65] offset0:102 offset1:153
	ds_store_2addr_b64 v134, v[74:75], v[76:77] offset0:204 offset1:255
	;; [unrolled: 1-line block ×7, first 2 shown]
	global_wb scope:SCOPE_SE
	s_wait_dscnt 0x0
	s_barrier_signal -1
	s_barrier_wait -1
	global_inv scope:SCOPE_SE
	s_clause 0x3
	global_load_b128 v[35:38], v[40:41], off offset:2992
	global_load_b128 v[42:45], v[40:41], off offset:3808
	global_load_b128 v[46:49], v[40:41], off offset:4624
	global_load_b128 v[50:53], v[40:41], off offset:5440
	ds_load_2addr_b64 v[54:57], v32 offset0:152 offset1:203
	ds_load_2addr_b64 v[58:61], v33 offset0:126 offset1:177
	ds_load_2addr_b64 v[62:65], v34 offset0:100 offset1:151
	ds_load_2addr_b64 v[66:69], v34 offset0:202 offset1:253
	s_wait_loadcnt_dscnt 0x303
	v_mul_f64_e32 v[70:71], v[54:55], v[37:38]
	s_wait_loadcnt 0x2
	v_mul_f64_e32 v[72:73], v[56:57], v[44:45]
	s_wait_loadcnt_dscnt 0x102
	v_mul_f64_e32 v[74:75], v[58:59], v[48:49]
	s_wait_loadcnt 0x0
	v_mul_f64_e32 v[76:77], v[60:61], v[52:53]
	s_wait_dscnt 0x1
	v_mul_f64_e32 v[78:79], v[62:63], v[37:38]
	v_mul_f64_e32 v[80:81], v[64:65], v[44:45]
	s_wait_dscnt 0x0
	v_mul_f64_e32 v[82:83], v[66:67], v[48:49]
	v_mul_f64_e32 v[84:85], v[68:69], v[52:53]
	;; [unrolled: 1-line block ×10, first 2 shown]
	v_fma_f64 v[70:71], v[4:5], v[35:36], -v[70:71]
	v_fma_f64 v[72:73], v[6:7], v[42:43], -v[72:73]
	;; [unrolled: 1-line block ×8, first 2 shown]
	v_fma_f64 v[54:55], v[54:55], v[35:36], v[86:87]
	v_fma_f64 v[56:57], v[56:57], v[42:43], v[88:89]
	;; [unrolled: 1-line block ×8, first 2 shown]
	ds_load_2addr_b64 v[4:7], v134 offset1:51
	v_add_f64_e64 v[46:47], v[0:1], -v[70:71]
	v_add_f64_e64 v[48:49], v[2:3], -v[72:73]
	;; [unrolled: 1-line block ×8, first 2 shown]
	ds_load_2addr_b64 v[12:15], v134 offset0:102 offset1:153
	ds_load_2addr_b64 v[20:23], v134 offset0:204 offset1:255
	;; [unrolled: 1-line block ×3, first 2 shown]
	s_wait_dscnt 0x3
	v_add_f64_e64 v[54:55], v[4:5], -v[54:55]
	v_add_f64_e64 v[56:57], v[6:7], -v[56:57]
	global_wb scope:SCOPE_SE
	s_wait_dscnt 0x0
	s_barrier_signal -1
	s_barrier_wait -1
	global_inv scope:SCOPE_SE
	v_add_f64_e64 v[58:59], v[12:13], -v[58:59]
	v_add_f64_e64 v[60:61], v[14:15], -v[60:61]
	v_add_f64_e64 v[35:36], v[20:21], -v[35:36]
	v_add_f64_e64 v[37:38], v[22:23], -v[37:38]
	v_add_f64_e64 v[42:43], v[28:29], -v[42:43]
	v_add_f64_e64 v[44:45], v[30:31], -v[44:45]
	v_fma_f64 v[0:1], v[0:1], 2.0, -v[46:47]
	v_fma_f64 v[2:3], v[2:3], 2.0, -v[48:49]
	;; [unrolled: 1-line block ×8, first 2 shown]
	ds_store_2addr_b64 v134, v[46:47], v[48:49] offset0:204 offset1:255
	ds_store_2addr_b64 v32, v[50:51], v[52:53] offset0:50 offset1:101
	;; [unrolled: 1-line block ×4, first 2 shown]
	ds_store_2addr_b64 v134, v[0:1], v[2:3] offset1:51
	ds_store_2addr_b64 v134, v[8:9], v[10:11] offset0:102 offset1:153
	ds_store_2addr_b64 v32, v[16:17], v[18:19] offset0:152 offset1:203
	;; [unrolled: 1-line block ×3, first 2 shown]
	v_fma_f64 v[70:71], v[4:5], 2.0, -v[54:55]
	v_fma_f64 v[72:73], v[6:7], 2.0, -v[56:57]
	;; [unrolled: 1-line block ×8, first 2 shown]
	global_wb scope:SCOPE_SE
	s_wait_dscnt 0x0
	s_barrier_signal -1
	s_barrier_wait -1
	global_inv scope:SCOPE_SE
	ds_load_2addr_b64 v[12:15], v134 offset1:51
	ds_load_2addr_b64 v[28:31], v32 offset0:152 offset1:203
	ds_load_2addr_b64 v[8:11], v134 offset0:102 offset1:153
	ds_load_2addr_b64 v[24:27], v33 offset0:126 offset1:177
	ds_load_2addr_b64 v[4:7], v134 offset0:204 offset1:255
	ds_load_2addr_b64 v[16:19], v34 offset0:100 offset1:151
	ds_load_2addr_b64 v[0:3], v32 offset0:50 offset1:101
	ds_load_2addr_b64 v[20:23], v34 offset0:202 offset1:253
	global_wb scope:SCOPE_SE
	s_wait_dscnt 0x0
	s_barrier_signal -1
	s_barrier_wait -1
	global_inv scope:SCOPE_SE
	ds_store_2addr_b64 v134, v[70:71], v[72:73] offset1:51
	ds_store_2addr_b64 v134, v[54:55], v[56:57] offset0:204 offset1:255
	ds_store_2addr_b64 v134, v[74:75], v[76:77] offset0:102 offset1:153
	;; [unrolled: 1-line block ×7, first 2 shown]
	global_wb scope:SCOPE_SE
	s_wait_dscnt 0x0
	s_barrier_signal -1
	s_barrier_wait -1
	global_inv scope:SCOPE_SE
	s_and_saveexec_b32 s0, vcc_lo
	s_cbranch_execz .LBB0_25
; %bb.24:
	s_clause 0x7
	global_load_b128 v[32:35], v[40:41], off offset:11968
	global_load_b128 v[36:39], v[40:41], off offset:11152
	;; [unrolled: 1-line block ×8, first 2 shown]
	v_mul_hi_u32 v118, 0xa0a0a0a1, v141
	v_mad_co_u64_u32 v[40:41], null, s8, v124, 0
	v_mul_hi_u32 v116, 0xa0a0a0a1, v135
	v_mul_hi_u32 v117, 0xa0a0a0a1, v139
	v_mad_co_u64_u32 v[98:99], null, s8, v138, 0
	v_mad_co_u64_u32 v[100:101], null, s8, v137, 0
	v_lshrrev_b32_e32 v128, 8, v118
	v_add_co_u32 v149, vcc_lo, s10, v126
	s_wait_alu 0xfffd
	v_add_co_ci_u32_e32 v150, vcc_lo, s11, v127, vcc_lo
	s_delay_alu instid0(VALU_DEP_3)
	v_mad_u32_u24 v151, 0x198, v128, v141
	v_lshrrev_b32_e32 v121, 8, v116
	v_lshrrev_b32_e32 v127, 8, v117
	v_mad_co_u64_u32 v[102:103], null, s8, v136, 0
	v_mad_co_u64_u32 v[104:105], null, s8, v140, 0
	v_add_nc_u32_e32 v123, 0x1cb, v124
	v_mad_u32_u24 v146, 0x198, v121, v135
	ds_load_2addr_b64 v[66:69], v134 offset0:204 offset1:255
	ds_load_2addr_b64 v[70:73], v134 offset0:102 offset1:153
	ds_load_2addr_b64 v[74:77], v134 offset1:51
	v_mad_u32_u24 v148, 0x198, v127, v139
	v_mad_co_u64_u32 v[108:109], null, s8, v123, 0
	v_add_nc_u32_e32 v86, 0x1000, v134
	s_delay_alu instid0(VALU_DEP_3)
	v_mad_co_u64_u32 v[127:128], null, s8, v148, 0
	s_wait_loadcnt 0x5
	v_mad_co_u64_u32 v[116:117], null, s9, v124, v[41:42]
	v_mad_co_u64_u32 v[117:118], null, s9, v138, v[99:100]
	v_dual_mov_b32 v99, v109 :: v_dual_add_nc_u32 v154, 0x198, v151
	v_mad_co_u64_u32 v[118:119], null, s9, v137, v[101:102]
	v_mad_co_u64_u32 v[119:120], null, s9, v136, v[103:104]
	s_delay_alu instid0(VALU_DEP_3) | instskip(SKIP_2) | instid1(VALU_DEP_2)
	v_mad_co_u64_u32 v[132:133], null, s8, v154, 0
	v_add_nc_u32_e32 v129, 0x2ca, v124
	v_add_nc_u32_e32 v152, 0x198, v146
	v_mad_co_u64_u32 v[114:115], null, s8, v129, 0
	v_add_nc_u32_e32 v126, 0x231, v124
	s_delay_alu instid0(VALU_DEP_1) | instskip(NEXT) | instid1(VALU_DEP_1)
	v_mad_co_u64_u32 v[112:113], null, s8, v126, 0
	v_dual_mov_b32 v103, v113 :: v_dual_add_nc_u32 v122, 0x198, v124
	s_delay_alu instid0(VALU_DEP_1) | instskip(NEXT) | instid1(VALU_DEP_1)
	v_mad_co_u64_u32 v[106:107], null, s8, v122, 0
	v_dual_mov_b32 v41, v107 :: v_dual_add_nc_u32 v94, 0x800, v134
	s_delay_alu instid0(VALU_DEP_2) | instskip(SKIP_1) | instid1(VALU_DEP_3)
	v_mad_co_u64_u32 v[120:121], null, s9, v140, v[105:106]
	v_mov_b32_e32 v105, v115
	v_mad_co_u64_u32 v[121:122], null, s9, v122, v[41:42]
	v_mad_co_u64_u32 v[122:123], null, s9, v123, v[99:100]
	s_delay_alu instid0(VALU_DEP_3)
	v_mad_co_u64_u32 v[129:130], null, s9, v129, v[105:106]
	v_mad_co_u64_u32 v[130:131], null, s8, v151, 0
	v_add_nc_u32_e32 v125, 0x1fe, v124
	v_mov_b32_e32 v107, v121
	v_mov_b32_e32 v109, v122
	;; [unrolled: 1-line block ×4, first 2 shown]
	v_dual_mov_b32 v41, v116 :: v_dual_mov_b32 v122, v131
	v_mad_co_u64_u32 v[110:111], null, s8, v125, 0
	v_dual_mov_b32 v105, v120 :: v_dual_add_nc_u32 v90, 0xc00, v134
	s_delay_alu instid0(VALU_DEP_3)
	v_lshlrev_b64_e32 v[40:41], 4, v[40:41]
	v_mov_b32_e32 v99, v117
	v_mad_co_u64_u32 v[116:117], null, s8, v152, 0
	v_mov_b32_e32 v101, v111
	ds_load_2addr_b64 v[78:81], v94 offset0:50 offset1:101
	ds_load_2addr_b64 v[82:85], v86 offset0:202 offset1:253
	;; [unrolled: 1-line block ×5, first 2 shown]
	v_lshlrev_b64_e32 v[98:99], 4, v[98:99]
	v_lshlrev_b64_e32 v[106:107], 4, v[106:107]
	;; [unrolled: 1-line block ×3, first 2 shown]
	v_mad_co_u64_u32 v[123:124], null, s9, v125, v[101:102]
	v_mad_co_u64_u32 v[124:125], null, s9, v126, v[103:104]
	;; [unrolled: 1-line block ×3, first 2 shown]
	v_mov_b32_e32 v103, v119
	v_lshlrev_b64_e32 v[104:105], 4, v[104:105]
	v_mov_b32_e32 v111, v123
	v_lshlrev_b64_e32 v[114:115], 4, v[114:115]
	;; [unrolled: 2-line block ×3, first 2 shown]
	v_mov_b32_e32 v120, v126
	s_wait_dscnt 0x3
	v_mul_f64_e32 v[123:124], v[32:33], v[84:85]
	v_mul_f64_e32 v[84:85], v[34:35], v[84:85]
	;; [unrolled: 1-line block ×3, first 2 shown]
	s_wait_dscnt 0x0
	v_mul_f64_e32 v[134:135], v[42:43], v[94:95]
	v_mul_f64_e32 v[94:95], v[44:45], v[94:95]
	s_wait_loadcnt 0x4
	v_mul_f64_e32 v[136:137], v[46:47], v[96:97]
	v_mul_f64_e32 v[96:97], v[48:49], v[96:97]
	s_wait_loadcnt 0x3
	;; [unrolled: 3-line block ×5, first 2 shown]
	v_mul_f64_e32 v[144:145], v[62:63], v[88:89]
	v_mul_f64_e32 v[88:89], v[64:65], v[88:89]
	;; [unrolled: 1-line block ×3, first 2 shown]
	v_mad_co_u64_u32 v[146:147], null, s9, v146, v[120:121]
	v_add_co_u32 v147, vcc_lo, v149, v40
	v_add_nc_u32_e32 v153, 0x198, v148
	v_mad_co_u64_u32 v[120:121], null, s9, v148, v[121:122]
	s_wait_alu 0xfffd
	v_add_co_ci_u32_e32 v148, vcc_lo, v150, v41, vcc_lo
	v_dual_mov_b32 v126, v146 :: v_dual_mov_b32 v101, v118
	v_mad_co_u64_u32 v[118:119], null, s8, v153, 0
	v_add_co_u32 v98, vcc_lo, v149, v98
	s_wait_alu 0xfffd
	v_add_co_ci_u32_e32 v99, vcc_lo, v150, v99, vcc_lo
	v_lshlrev_b64_e32 v[110:111], 4, v[110:111]
	v_lshlrev_b64_e32 v[112:113], 4, v[112:113]
	v_fma_f64 v[34:35], v[22:23], v[34:35], v[123:124]
	v_fma_f64 v[22:23], v[22:23], v[32:33], -v[84:85]
	v_fma_f64 v[32:33], v[20:21], v[38:39], v[128:129]
	v_mov_b32_e32 v128, v120
	v_fma_f64 v[38:39], v[28:29], v[44:45], v[134:135]
	v_fma_f64 v[28:29], v[28:29], v[42:43], -v[94:95]
	v_fma_f64 v[40:41], v[30:31], v[48:49], v[136:137]
	v_fma_f64 v[42:43], v[30:31], v[46:47], -v[96:97]
	;; [unrolled: 2-line block ×6, first 2 shown]
	v_fma_f64 v[20:21], v[20:21], v[36:37], -v[82:83]
	v_lshlrev_b64_e32 v[100:101], 4, v[100:101]
	v_mad_co_u64_u32 v[121:122], null, s9, v151, v[122:123]
	v_mov_b32_e32 v122, v133
	v_mad_co_u64_u32 v[60:61], null, s9, v152, v[117:118]
	s_delay_alu instid0(VALU_DEP_4) | instskip(SKIP_1) | instid1(VALU_DEP_4)
	v_add_co_u32 v100, vcc_lo, v149, v100
	v_mad_co_u64_u32 v[61:62], null, s9, v153, v[119:120]
	v_mad_co_u64_u32 v[62:63], null, s9, v154, v[122:123]
	s_wait_alu 0xfffd
	v_add_co_ci_u32_e32 v101, vcc_lo, v150, v101, vcc_lo
	v_add_co_u32 v82, vcc_lo, v149, v102
	s_wait_alu 0xfffd
	v_add_co_ci_u32_e32 v83, vcc_lo, v150, v103, vcc_lo
	v_add_co_u32 v84, vcc_lo, v149, v104
	s_wait_alu 0xfffd
	v_add_co_ci_u32_e32 v85, vcc_lo, v150, v105, vcc_lo
	v_add_f64_e64 v[18:19], v[80:81], -v[34:35]
	v_add_f64_e64 v[16:17], v[2:3], -v[22:23]
	;; [unrolled: 1-line block ×16, first 2 shown]
	v_add_co_u32 v86, vcc_lo, v149, v106
	v_mov_b32_e32 v117, v60
	v_mov_b32_e32 v119, v61
	;; [unrolled: 1-line block ×3, first 2 shown]
	s_wait_alu 0xfffd
	v_add_co_ci_u32_e32 v87, vcc_lo, v150, v107, vcc_lo
	v_add_co_u32 v88, vcc_lo, v149, v108
	s_wait_alu 0xfffd
	v_add_co_ci_u32_e32 v89, vcc_lo, v150, v109, vcc_lo
	v_add_co_u32 v90, vcc_lo, v149, v110
	;; [unrolled: 3-line block ×3, first 2 shown]
	v_lshlrev_b64_e32 v[96:97], 4, v[125:126]
	v_mov_b32_e32 v131, v121
	s_wait_alu 0xfffd
	v_add_co_ci_u32_e32 v93, vcc_lo, v150, v113, vcc_lo
	v_add_co_u32 v94, vcc_lo, v149, v114
	v_fma_f64 v[50:51], v[80:81], 2.0, -v[18:19]
	v_fma_f64 v[48:49], v[2:3], 2.0, -v[16:17]
	;; [unrolled: 1-line block ×16, first 2 shown]
	v_lshlrev_b64_e32 v[102:103], 4, v[127:128]
	s_wait_alu 0xfffd
	v_add_co_ci_u32_e32 v95, vcc_lo, v150, v115, vcc_lo
	v_lshlrev_b64_e32 v[104:105], 4, v[130:131]
	v_add_co_u32 v0, vcc_lo, v149, v96
	s_wait_alu 0xfffd
	v_add_co_ci_u32_e32 v1, vcc_lo, v150, v97, vcc_lo
	v_lshlrev_b64_e32 v[106:107], 4, v[116:117]
	v_add_co_u32 v2, vcc_lo, v149, v102
	s_wait_alu 0xfffd
	v_add_co_ci_u32_e32 v3, vcc_lo, v150, v103, vcc_lo
	v_lshlrev_b64_e32 v[108:109], 4, v[118:119]
	v_add_co_u32 v68, vcc_lo, v149, v104
	s_wait_alu 0xfffd
	v_add_co_ci_u32_e32 v69, vcc_lo, v150, v105, vcc_lo
	v_lshlrev_b64_e32 v[110:111], 4, v[132:133]
	v_add_co_u32 v70, vcc_lo, v149, v106
	s_wait_alu 0xfffd
	v_add_co_ci_u32_e32 v71, vcc_lo, v150, v107, vcc_lo
	v_add_co_u32 v72, vcc_lo, v149, v108
	s_wait_alu 0xfffd
	v_add_co_ci_u32_e32 v73, vcc_lo, v150, v109, vcc_lo
	v_add_co_u32 v74, vcc_lo, v149, v110
	s_wait_alu 0xfffd
	v_add_co_ci_u32_e32 v75, vcc_lo, v150, v111, vcc_lo
	s_clause 0xf
	global_store_b128 v[147:148], v[52:55], off
	global_store_b128 v[86:87], v[24:27], off
	;; [unrolled: 1-line block ×16, first 2 shown]
.LBB0_25:
	s_nop 0
	s_sendmsg sendmsg(MSG_DEALLOC_VGPRS)
	s_endpgm
	.section	.rodata,"a",@progbits
	.p2align	6, 0x0
	.amdhsa_kernel fft_rtc_fwd_len816_factors_17_2_3_2_2_2_wgs_51_tpt_51_halfLds_dp_ip_CI_sbrr_dirReg
		.amdhsa_group_segment_fixed_size 0
		.amdhsa_private_segment_fixed_size 0
		.amdhsa_kernarg_size 88
		.amdhsa_user_sgpr_count 2
		.amdhsa_user_sgpr_dispatch_ptr 0
		.amdhsa_user_sgpr_queue_ptr 0
		.amdhsa_user_sgpr_kernarg_segment_ptr 1
		.amdhsa_user_sgpr_dispatch_id 0
		.amdhsa_user_sgpr_private_segment_size 0
		.amdhsa_wavefront_size32 1
		.amdhsa_uses_dynamic_stack 0
		.amdhsa_enable_private_segment 0
		.amdhsa_system_sgpr_workgroup_id_x 1
		.amdhsa_system_sgpr_workgroup_id_y 0
		.amdhsa_system_sgpr_workgroup_id_z 0
		.amdhsa_system_sgpr_workgroup_info 0
		.amdhsa_system_vgpr_workitem_id 0
		.amdhsa_next_free_vgpr 212
		.amdhsa_next_free_sgpr 56
		.amdhsa_reserve_vcc 1
		.amdhsa_float_round_mode_32 0
		.amdhsa_float_round_mode_16_64 0
		.amdhsa_float_denorm_mode_32 3
		.amdhsa_float_denorm_mode_16_64 3
		.amdhsa_fp16_overflow 0
		.amdhsa_workgroup_processor_mode 1
		.amdhsa_memory_ordered 1
		.amdhsa_forward_progress 0
		.amdhsa_round_robin_scheduling 0
		.amdhsa_exception_fp_ieee_invalid_op 0
		.amdhsa_exception_fp_denorm_src 0
		.amdhsa_exception_fp_ieee_div_zero 0
		.amdhsa_exception_fp_ieee_overflow 0
		.amdhsa_exception_fp_ieee_underflow 0
		.amdhsa_exception_fp_ieee_inexact 0
		.amdhsa_exception_int_div_zero 0
	.end_amdhsa_kernel
	.text
.Lfunc_end0:
	.size	fft_rtc_fwd_len816_factors_17_2_3_2_2_2_wgs_51_tpt_51_halfLds_dp_ip_CI_sbrr_dirReg, .Lfunc_end0-fft_rtc_fwd_len816_factors_17_2_3_2_2_2_wgs_51_tpt_51_halfLds_dp_ip_CI_sbrr_dirReg
                                        ; -- End function
	.section	.AMDGPU.csdata,"",@progbits
; Kernel info:
; codeLenInByte = 15324
; NumSgprs: 58
; NumVgprs: 212
; ScratchSize: 0
; MemoryBound: 1
; FloatMode: 240
; IeeeMode: 1
; LDSByteSize: 0 bytes/workgroup (compile time only)
; SGPRBlocks: 7
; VGPRBlocks: 26
; NumSGPRsForWavesPerEU: 58
; NumVGPRsForWavesPerEU: 212
; Occupancy: 7
; WaveLimiterHint : 1
; COMPUTE_PGM_RSRC2:SCRATCH_EN: 0
; COMPUTE_PGM_RSRC2:USER_SGPR: 2
; COMPUTE_PGM_RSRC2:TRAP_HANDLER: 0
; COMPUTE_PGM_RSRC2:TGID_X_EN: 1
; COMPUTE_PGM_RSRC2:TGID_Y_EN: 0
; COMPUTE_PGM_RSRC2:TGID_Z_EN: 0
; COMPUTE_PGM_RSRC2:TIDIG_COMP_CNT: 0
	.text
	.p2alignl 7, 3214868480
	.fill 96, 4, 3214868480
	.type	__hip_cuid_5344e760756b416b,@object ; @__hip_cuid_5344e760756b416b
	.section	.bss,"aw",@nobits
	.globl	__hip_cuid_5344e760756b416b
__hip_cuid_5344e760756b416b:
	.byte	0                               ; 0x0
	.size	__hip_cuid_5344e760756b416b, 1

	.ident	"AMD clang version 19.0.0git (https://github.com/RadeonOpenCompute/llvm-project roc-6.4.0 25133 c7fe45cf4b819c5991fe208aaa96edf142730f1d)"
	.section	".note.GNU-stack","",@progbits
	.addrsig
	.addrsig_sym __hip_cuid_5344e760756b416b
	.amdgpu_metadata
---
amdhsa.kernels:
  - .args:
      - .actual_access:  read_only
        .address_space:  global
        .offset:         0
        .size:           8
        .value_kind:     global_buffer
      - .offset:         8
        .size:           8
        .value_kind:     by_value
      - .actual_access:  read_only
        .address_space:  global
        .offset:         16
        .size:           8
        .value_kind:     global_buffer
      - .actual_access:  read_only
        .address_space:  global
        .offset:         24
        .size:           8
        .value_kind:     global_buffer
      - .offset:         32
        .size:           8
        .value_kind:     by_value
      - .actual_access:  read_only
        .address_space:  global
        .offset:         40
        .size:           8
        .value_kind:     global_buffer
      - .actual_access:  read_only
        .address_space:  global
        .offset:         48
        .size:           8
        .value_kind:     global_buffer
      - .offset:         56
        .size:           4
        .value_kind:     by_value
      - .actual_access:  read_only
        .address_space:  global
        .offset:         64
        .size:           8
        .value_kind:     global_buffer
      - .actual_access:  read_only
        .address_space:  global
        .offset:         72
        .size:           8
        .value_kind:     global_buffer
      - .address_space:  global
        .offset:         80
        .size:           8
        .value_kind:     global_buffer
    .group_segment_fixed_size: 0
    .kernarg_segment_align: 8
    .kernarg_segment_size: 88
    .language:       OpenCL C
    .language_version:
      - 2
      - 0
    .max_flat_workgroup_size: 51
    .name:           fft_rtc_fwd_len816_factors_17_2_3_2_2_2_wgs_51_tpt_51_halfLds_dp_ip_CI_sbrr_dirReg
    .private_segment_fixed_size: 0
    .sgpr_count:     58
    .sgpr_spill_count: 0
    .symbol:         fft_rtc_fwd_len816_factors_17_2_3_2_2_2_wgs_51_tpt_51_halfLds_dp_ip_CI_sbrr_dirReg.kd
    .uniform_work_group_size: 1
    .uses_dynamic_stack: false
    .vgpr_count:     212
    .vgpr_spill_count: 0
    .wavefront_size: 32
    .workgroup_processor_mode: 1
amdhsa.target:   amdgcn-amd-amdhsa--gfx1201
amdhsa.version:
  - 1
  - 2
...

	.end_amdgpu_metadata
